;; amdgpu-corpus repo=ROCm/rocFFT kind=compiled arch=gfx906 opt=O3
	.text
	.amdgcn_target "amdgcn-amd-amdhsa--gfx906"
	.amdhsa_code_object_version 6
	.protected	fft_rtc_fwd_len3375_factors_5_5_5_3_3_3_wgs_225_tpt_225_halfLds_dp_op_CI_CI_sbrr_dirReg ; -- Begin function fft_rtc_fwd_len3375_factors_5_5_5_3_3_3_wgs_225_tpt_225_halfLds_dp_op_CI_CI_sbrr_dirReg
	.globl	fft_rtc_fwd_len3375_factors_5_5_5_3_3_3_wgs_225_tpt_225_halfLds_dp_op_CI_CI_sbrr_dirReg
	.p2align	8
	.type	fft_rtc_fwd_len3375_factors_5_5_5_3_3_3_wgs_225_tpt_225_halfLds_dp_op_CI_CI_sbrr_dirReg,@function
fft_rtc_fwd_len3375_factors_5_5_5_3_3_3_wgs_225_tpt_225_halfLds_dp_op_CI_CI_sbrr_dirReg: ; @fft_rtc_fwd_len3375_factors_5_5_5_3_3_3_wgs_225_tpt_225_halfLds_dp_op_CI_CI_sbrr_dirReg
; %bb.0:
	s_load_dwordx4 s[16:19], s[4:5], 0x18
	s_load_dwordx4 s[12:15], s[4:5], 0x0
	;; [unrolled: 1-line block ×3, first 2 shown]
	v_mul_u32_u24_e32 v1, 0x124, v0
	v_add_u32_sdwa v6, s6, v1 dst_sel:DWORD dst_unused:UNUSED_PAD src0_sel:DWORD src1_sel:WORD_1
	s_waitcnt lgkmcnt(0)
	s_load_dwordx2 s[20:21], s[16:17], 0x0
	s_load_dwordx2 s[2:3], s[18:19], 0x0
	v_cmp_lt_u64_e64 s[0:1], s[14:15], 2
	v_mov_b32_e32 v1, 0
	v_mov_b32_e32 v4, 0
	;; [unrolled: 1-line block ×3, first 2 shown]
	s_and_b64 vcc, exec, s[0:1]
	v_mov_b32_e32 v5, 0
	s_cbranch_vccnz .LBB0_8
; %bb.1:
	s_load_dwordx2 s[0:1], s[4:5], 0x10
	s_add_u32 s6, s18, 8
	s_addc_u32 s7, s19, 0
	s_add_u32 s22, s16, 8
	v_mov_b32_e32 v4, 0
	s_addc_u32 s23, s17, 0
	v_mov_b32_e32 v5, 0
	s_waitcnt lgkmcnt(0)
	s_add_u32 s24, s0, 8
	v_mov_b32_e32 v61, v5
	s_addc_u32 s25, s1, 0
	s_mov_b64 s[26:27], 1
	v_mov_b32_e32 v60, v4
.LBB0_2:                                ; =>This Inner Loop Header: Depth=1
	s_load_dwordx2 s[28:29], s[24:25], 0x0
                                        ; implicit-def: $vgpr62_vgpr63
	s_waitcnt lgkmcnt(0)
	v_or_b32_e32 v2, s29, v7
	v_cmp_ne_u64_e32 vcc, 0, v[1:2]
	s_and_saveexec_b64 s[0:1], vcc
	s_xor_b64 s[30:31], exec, s[0:1]
	s_cbranch_execz .LBB0_4
; %bb.3:                                ;   in Loop: Header=BB0_2 Depth=1
	v_cvt_f32_u32_e32 v2, s28
	v_cvt_f32_u32_e32 v3, s29
	s_sub_u32 s0, 0, s28
	s_subb_u32 s1, 0, s29
	v_mac_f32_e32 v2, 0x4f800000, v3
	v_rcp_f32_e32 v2, v2
	v_mul_f32_e32 v2, 0x5f7ffffc, v2
	v_mul_f32_e32 v3, 0x2f800000, v2
	v_trunc_f32_e32 v3, v3
	v_mac_f32_e32 v2, 0xcf800000, v3
	v_cvt_u32_f32_e32 v3, v3
	v_cvt_u32_f32_e32 v2, v2
	v_mul_lo_u32 v8, s0, v3
	v_mul_hi_u32 v9, s0, v2
	v_mul_lo_u32 v11, s1, v2
	v_mul_lo_u32 v10, s0, v2
	v_add_u32_e32 v8, v9, v8
	v_add_u32_e32 v8, v8, v11
	v_mul_hi_u32 v9, v2, v10
	v_mul_lo_u32 v11, v2, v8
	v_mul_hi_u32 v13, v2, v8
	v_mul_hi_u32 v12, v3, v10
	v_mul_lo_u32 v10, v3, v10
	v_mul_hi_u32 v14, v3, v8
	v_add_co_u32_e32 v9, vcc, v9, v11
	v_addc_co_u32_e32 v11, vcc, 0, v13, vcc
	v_mul_lo_u32 v8, v3, v8
	v_add_co_u32_e32 v9, vcc, v9, v10
	v_addc_co_u32_e32 v9, vcc, v11, v12, vcc
	v_addc_co_u32_e32 v10, vcc, 0, v14, vcc
	v_add_co_u32_e32 v8, vcc, v9, v8
	v_addc_co_u32_e32 v9, vcc, 0, v10, vcc
	v_add_co_u32_e32 v2, vcc, v2, v8
	v_addc_co_u32_e32 v3, vcc, v3, v9, vcc
	v_mul_lo_u32 v8, s0, v3
	v_mul_hi_u32 v9, s0, v2
	v_mul_lo_u32 v10, s1, v2
	v_mul_lo_u32 v11, s0, v2
	v_add_u32_e32 v8, v9, v8
	v_add_u32_e32 v8, v8, v10
	v_mul_lo_u32 v12, v2, v8
	v_mul_hi_u32 v13, v2, v11
	v_mul_hi_u32 v14, v2, v8
	;; [unrolled: 1-line block ×3, first 2 shown]
	v_mul_lo_u32 v11, v3, v11
	v_mul_hi_u32 v9, v3, v8
	v_add_co_u32_e32 v12, vcc, v13, v12
	v_addc_co_u32_e32 v13, vcc, 0, v14, vcc
	v_mul_lo_u32 v8, v3, v8
	v_add_co_u32_e32 v11, vcc, v12, v11
	v_addc_co_u32_e32 v10, vcc, v13, v10, vcc
	v_addc_co_u32_e32 v9, vcc, 0, v9, vcc
	v_add_co_u32_e32 v8, vcc, v10, v8
	v_addc_co_u32_e32 v9, vcc, 0, v9, vcc
	v_add_co_u32_e32 v8, vcc, v2, v8
	v_addc_co_u32_e32 v9, vcc, v3, v9, vcc
	v_mad_u64_u32 v[2:3], s[0:1], v6, v9, 0
	v_mul_hi_u32 v10, v6, v8
	v_add_co_u32_e32 v10, vcc, v10, v2
	v_addc_co_u32_e32 v11, vcc, 0, v3, vcc
	v_mad_u64_u32 v[2:3], s[0:1], v7, v8, 0
	v_mad_u64_u32 v[8:9], s[0:1], v7, v9, 0
	v_add_co_u32_e32 v2, vcc, v10, v2
	v_addc_co_u32_e32 v2, vcc, v11, v3, vcc
	v_addc_co_u32_e32 v3, vcc, 0, v9, vcc
	v_add_co_u32_e32 v8, vcc, v2, v8
	v_addc_co_u32_e32 v9, vcc, 0, v3, vcc
	v_mul_lo_u32 v10, s29, v8
	v_mul_lo_u32 v11, s28, v9
	v_mad_u64_u32 v[2:3], s[0:1], s28, v8, 0
	v_add3_u32 v3, v3, v11, v10
	v_sub_u32_e32 v10, v7, v3
	v_mov_b32_e32 v11, s29
	v_sub_co_u32_e32 v2, vcc, v6, v2
	v_subb_co_u32_e64 v10, s[0:1], v10, v11, vcc
	v_subrev_co_u32_e64 v11, s[0:1], s28, v2
	v_subbrev_co_u32_e64 v10, s[0:1], 0, v10, s[0:1]
	v_cmp_le_u32_e64 s[0:1], s29, v10
	v_cndmask_b32_e64 v12, 0, -1, s[0:1]
	v_cmp_le_u32_e64 s[0:1], s28, v11
	v_cndmask_b32_e64 v11, 0, -1, s[0:1]
	v_cmp_eq_u32_e64 s[0:1], s29, v10
	v_cndmask_b32_e64 v10, v12, v11, s[0:1]
	v_add_co_u32_e64 v11, s[0:1], 2, v8
	v_addc_co_u32_e64 v12, s[0:1], 0, v9, s[0:1]
	v_add_co_u32_e64 v13, s[0:1], 1, v8
	v_addc_co_u32_e64 v14, s[0:1], 0, v9, s[0:1]
	v_subb_co_u32_e32 v3, vcc, v7, v3, vcc
	v_cmp_ne_u32_e64 s[0:1], 0, v10
	v_cmp_le_u32_e32 vcc, s29, v3
	v_cndmask_b32_e64 v10, v14, v12, s[0:1]
	v_cndmask_b32_e64 v12, 0, -1, vcc
	v_cmp_le_u32_e32 vcc, s28, v2
	v_cndmask_b32_e64 v2, 0, -1, vcc
	v_cmp_eq_u32_e32 vcc, s29, v3
	v_cndmask_b32_e32 v2, v12, v2, vcc
	v_cmp_ne_u32_e32 vcc, 0, v2
	v_cndmask_b32_e64 v2, v13, v11, s[0:1]
	v_cndmask_b32_e32 v63, v9, v10, vcc
	v_cndmask_b32_e32 v62, v8, v2, vcc
.LBB0_4:                                ;   in Loop: Header=BB0_2 Depth=1
	s_andn2_saveexec_b64 s[0:1], s[30:31]
	s_cbranch_execz .LBB0_6
; %bb.5:                                ;   in Loop: Header=BB0_2 Depth=1
	v_cvt_f32_u32_e32 v2, s28
	s_sub_i32 s30, 0, s28
	v_mov_b32_e32 v63, v1
	v_rcp_iflag_f32_e32 v2, v2
	v_mul_f32_e32 v2, 0x4f7ffffe, v2
	v_cvt_u32_f32_e32 v2, v2
	v_mul_lo_u32 v3, s30, v2
	v_mul_hi_u32 v3, v2, v3
	v_add_u32_e32 v2, v2, v3
	v_mul_hi_u32 v2, v6, v2
	v_mul_lo_u32 v3, v2, s28
	v_add_u32_e32 v8, 1, v2
	v_sub_u32_e32 v3, v6, v3
	v_subrev_u32_e32 v9, s28, v3
	v_cmp_le_u32_e32 vcc, s28, v3
	v_cndmask_b32_e32 v3, v3, v9, vcc
	v_cndmask_b32_e32 v2, v2, v8, vcc
	v_add_u32_e32 v8, 1, v2
	v_cmp_le_u32_e32 vcc, s28, v3
	v_cndmask_b32_e32 v62, v2, v8, vcc
.LBB0_6:                                ;   in Loop: Header=BB0_2 Depth=1
	s_or_b64 exec, exec, s[0:1]
	v_mul_lo_u32 v8, v63, s28
	v_mul_lo_u32 v9, v62, s29
	v_mad_u64_u32 v[2:3], s[0:1], v62, s28, 0
	s_load_dwordx2 s[0:1], s[22:23], 0x0
	s_load_dwordx2 s[28:29], s[6:7], 0x0
	v_add3_u32 v3, v3, v9, v8
	v_sub_co_u32_e32 v2, vcc, v6, v2
	v_subb_co_u32_e32 v3, vcc, v7, v3, vcc
	s_waitcnt lgkmcnt(0)
	v_mul_lo_u32 v6, s0, v3
	v_mul_lo_u32 v7, s1, v2
	v_mad_u64_u32 v[4:5], s[0:1], s0, v2, v[4:5]
	v_mul_lo_u32 v3, s28, v3
	v_mul_lo_u32 v8, s29, v2
	v_mad_u64_u32 v[60:61], s[0:1], s28, v2, v[60:61]
	s_add_u32 s26, s26, 1
	s_addc_u32 s27, s27, 0
	s_add_u32 s6, s6, 8
	v_add3_u32 v61, v8, v61, v3
	s_addc_u32 s7, s7, 0
	v_mov_b32_e32 v2, s14
	s_add_u32 s22, s22, 8
	v_mov_b32_e32 v3, s15
	s_addc_u32 s23, s23, 0
	v_cmp_ge_u64_e32 vcc, s[26:27], v[2:3]
	s_add_u32 s24, s24, 8
	v_add3_u32 v5, v7, v5, v6
	s_addc_u32 s25, s25, 0
	s_cbranch_vccnz .LBB0_9
; %bb.7:                                ;   in Loop: Header=BB0_2 Depth=1
	v_mov_b32_e32 v6, v62
	v_mov_b32_e32 v7, v63
	s_branch .LBB0_2
.LBB0_8:
	v_mov_b32_e32 v61, v5
	v_mov_b32_e32 v63, v7
	;; [unrolled: 1-line block ×4, first 2 shown]
.LBB0_9:
	s_load_dwordx2 s[0:1], s[4:5], 0x28
	s_lshl_b64 s[14:15], s[14:15], 3
	s_add_u32 s4, s18, s14
	s_addc_u32 s5, s19, s15
                                        ; implicit-def: $vgpr64
                                        ; implicit-def: $vgpr65
                                        ; implicit-def: $vgpr67
                                        ; implicit-def: $vgpr66
                                        ; implicit-def: $vgpr68
	s_waitcnt lgkmcnt(0)
	v_cmp_gt_u64_e32 vcc, s[0:1], v[62:63]
	v_cmp_le_u64_e64 s[0:1], s[0:1], v[62:63]
	s_and_saveexec_b64 s[6:7], s[0:1]
	s_xor_b64 s[0:1], exec, s[6:7]
; %bb.10:
	s_mov_b32 s6, 0x1234568
	v_mul_hi_u32 v1, v0, s6
                                        ; implicit-def: $vgpr4_vgpr5
	v_mul_u32_u24_e32 v1, 0xe1, v1
	v_sub_u32_e32 v64, v0, v1
	v_add_u32_e32 v65, 0xe1, v64
	v_add_u32_e32 v67, 0x1c2, v64
	;; [unrolled: 1-line block ×4, first 2 shown]
                                        ; implicit-def: $vgpr0
; %bb.11:
	s_or_saveexec_b64 s[6:7], s[0:1]
                                        ; implicit-def: $vgpr2_vgpr3
                                        ; implicit-def: $vgpr6_vgpr7
                                        ; implicit-def: $vgpr10_vgpr11
                                        ; implicit-def: $vgpr14_vgpr15
                                        ; implicit-def: $vgpr18_vgpr19
                                        ; implicit-def: $vgpr22_vgpr23
                                        ; implicit-def: $vgpr26_vgpr27
                                        ; implicit-def: $vgpr30_vgpr31
                                        ; implicit-def: $vgpr34_vgpr35
                                        ; implicit-def: $vgpr38_vgpr39
                                        ; implicit-def: $vgpr42_vgpr43
                                        ; implicit-def: $vgpr46_vgpr47
                                        ; implicit-def: $vgpr54_vgpr55
                                        ; implicit-def: $vgpr50_vgpr51
                                        ; implicit-def: $vgpr58_vgpr59
	s_xor_b64 exec, exec, s[6:7]
	s_cbranch_execz .LBB0_13
; %bb.12:
	s_add_u32 s0, s16, s14
	s_mov_b32 s14, 0x1234568
	s_addc_u32 s1, s17, s15
	v_mul_hi_u32 v1, v0, s14
	s_load_dwordx2 s[0:1], s[0:1], 0x0
	v_mul_u32_u24_e32 v1, 0xe1, v1
	v_sub_u32_e32 v64, v0, v1
	s_waitcnt lgkmcnt(0)
	v_mul_lo_u32 v8, s1, v62
	v_mad_u64_u32 v[0:1], s[14:15], s20, v64, 0
	v_mul_lo_u32 v9, s0, v63
	v_mad_u64_u32 v[2:3], s[0:1], s0, v62, 0
	v_add_u32_e32 v66, 0x2a3, v64
	v_add_u32_e32 v10, 0x7e9, v64
	v_mad_u64_u32 v[6:7], s[0:1], s21, v64, v[1:2]
	v_add3_u32 v3, v3, v9, v8
	v_lshlrev_b64 v[2:3], 4, v[2:3]
	v_mov_b32_e32 v1, v6
	v_mov_b32_e32 v6, s9
	v_add_co_u32_e64 v7, s[0:1], s8, v2
	v_addc_co_u32_e64 v6, s[0:1], v6, v3, s[0:1]
	v_lshlrev_b64 v[2:3], 4, v[4:5]
	v_mad_u64_u32 v[4:5], s[0:1], s20, v66, 0
	v_add_co_u32_e64 v12, s[0:1], v7, v2
	v_mov_b32_e32 v2, v5
	v_addc_co_u32_e64 v13, s[0:1], v6, v3, s[0:1]
	v_mad_u64_u32 v[2:3], s[0:1], s21, v66, v[2:3]
	v_add_u32_e32 v8, 0x546, v64
	v_mad_u64_u32 v[6:7], s[0:1], s20, v8, 0
	v_lshlrev_b64 v[0:1], 4, v[0:1]
	v_mov_b32_e32 v5, v2
	v_add_co_u32_e64 v0, s[0:1], v12, v0
	v_lshlrev_b64 v[2:3], 4, v[4:5]
	v_mov_b32_e32 v4, v7
	v_addc_co_u32_e64 v1, s[0:1], v13, v1, s[0:1]
	v_mad_u64_u32 v[4:5], s[0:1], s21, v8, v[4:5]
	v_mad_u64_u32 v[8:9], s[0:1], s20, v10, 0
	v_mov_b32_e32 v7, v4
	v_add_co_u32_e64 v2, s[0:1], v12, v2
	v_lshlrev_b64 v[4:5], 4, v[6:7]
	v_mov_b32_e32 v6, v9
	v_addc_co_u32_e64 v3, s[0:1], v13, v3, s[0:1]
	v_mad_u64_u32 v[6:7], s[0:1], s21, v10, v[6:7]
	v_add_u32_e32 v7, 0xa8c, v64
	v_mad_u64_u32 v[10:11], s[0:1], s20, v7, 0
	v_add_co_u32_e64 v69, s[0:1], v12, v4
	v_mov_b32_e32 v9, v6
	v_mov_b32_e32 v6, v11
	v_addc_co_u32_e64 v70, s[0:1], v13, v5, s[0:1]
	v_mad_u64_u32 v[6:7], s[0:1], s21, v7, v[6:7]
	v_add_u32_e32 v65, 0xe1, v64
	v_lshlrev_b64 v[4:5], 4, v[8:9]
	v_mad_u64_u32 v[7:8], s[0:1], s20, v65, 0
	v_add_co_u32_e64 v71, s[0:1], v12, v4
	v_mov_b32_e32 v11, v6
	v_mov_b32_e32 v6, v8
	v_addc_co_u32_e64 v72, s[0:1], v13, v5, s[0:1]
	v_mad_u64_u32 v[8:9], s[0:1], s21, v65, v[6:7]
	v_add_u32_e32 v68, 0x384, v64
	v_lshlrev_b64 v[4:5], 4, v[10:11]
	v_mad_u64_u32 v[9:10], s[0:1], s20, v68, 0
	v_add_co_u32_e64 v73, s[0:1], v12, v4
	v_mov_b32_e32 v6, v10
	v_addc_co_u32_e64 v74, s[0:1], v13, v5, s[0:1]
	v_lshlrev_b64 v[4:5], 4, v[7:8]
	v_mad_u64_u32 v[6:7], s[0:1], s21, v68, v[6:7]
	v_add_u32_e32 v11, 0x627, v64
	v_mad_u64_u32 v[7:8], s[0:1], s20, v11, 0
	v_add_co_u32_e64 v75, s[0:1], v12, v4
	v_mov_b32_e32 v10, v6
	v_mov_b32_e32 v6, v8
	v_addc_co_u32_e64 v76, s[0:1], v13, v5, s[0:1]
	v_lshlrev_b64 v[4:5], 4, v[9:10]
	v_mad_u64_u32 v[8:9], s[0:1], s21, v11, v[6:7]
	v_add_u32_e32 v11, 0x8ca, v64
	v_mad_u64_u32 v[9:10], s[0:1], s20, v11, 0
	v_add_co_u32_e64 v77, s[0:1], v12, v4
	v_mov_b32_e32 v6, v10
	v_addc_co_u32_e64 v78, s[0:1], v13, v5, s[0:1]
	v_lshlrev_b64 v[4:5], 4, v[7:8]
	v_mad_u64_u32 v[6:7], s[0:1], s21, v11, v[6:7]
	v_add_u32_e32 v11, 0xb6d, v64
	v_mad_u64_u32 v[7:8], s[0:1], s20, v11, 0
	v_add_co_u32_e64 v79, s[0:1], v12, v4
	v_mov_b32_e32 v10, v6
	v_mov_b32_e32 v6, v8
	v_addc_co_u32_e64 v80, s[0:1], v13, v5, s[0:1]
	v_lshlrev_b64 v[4:5], 4, v[9:10]
	v_mad_u64_u32 v[8:9], s[0:1], s21, v11, v[6:7]
	v_add_u32_e32 v67, 0x1c2, v64
	;; [unrolled: 15-line block ×4, first 2 shown]
	v_mad_u64_u32 v[9:10], s[0:1], s20, v11, 0
	v_add_co_u32_e64 v89, s[0:1], v12, v4
	v_mov_b32_e32 v6, v10
	v_addc_co_u32_e64 v90, s[0:1], v13, v5, s[0:1]
	v_lshlrev_b64 v[4:5], 4, v[7:8]
	v_mad_u64_u32 v[6:7], s[0:1], s21, v11, v[6:7]
	v_add_co_u32_e64 v91, s[0:1], v12, v4
	v_mov_b32_e32 v10, v6
	global_load_dwordx4 v[56:59], v[0:1], off
	global_load_dwordx4 v[48:51], v[2:3], off
	v_lshlrev_b64 v[0:1], 4, v[9:10]
	v_addc_co_u32_e64 v92, s[0:1], v13, v5, s[0:1]
	v_add_co_u32_e64 v93, s[0:1], v12, v0
	v_addc_co_u32_e64 v94, s[0:1], v13, v1, s[0:1]
	global_load_dwordx4 v[52:55], v[69:70], off
	global_load_dwordx4 v[44:47], v[71:72], off
	;; [unrolled: 1-line block ×13, first 2 shown]
.LBB0_13:
	s_or_b64 exec, exec, s[6:7]
	s_waitcnt vmcnt(13)
	v_add_f64 v[77:78], v[48:49], v[56:57]
	v_add_f64 v[79:80], v[50:51], v[58:59]
	s_waitcnt vmcnt(11)
	v_add_f64 v[69:70], v[44:45], v[52:53]
	s_waitcnt vmcnt(10)
	v_add_f64 v[71:72], v[40:41], v[48:49]
	v_add_f64 v[73:74], v[46:47], v[54:55]
	;; [unrolled: 1-line block ×3, first 2 shown]
	v_add_f64 v[81:82], v[52:53], -v[48:49]
	v_add_f64 v[83:84], v[50:51], -v[54:55]
	v_add_f64 v[77:78], v[52:53], v[77:78]
	v_add_f64 v[79:80], v[54:55], v[79:80]
	v_fma_f64 v[69:70], v[69:70], -0.5, v[56:57]
	v_fma_f64 v[56:57], v[71:72], -0.5, v[56:57]
	;; [unrolled: 1-line block ×4, first 2 shown]
	v_add_f64 v[73:74], v[50:51], -v[42:43]
	v_add_f64 v[75:76], v[48:49], -v[52:53]
	;; [unrolled: 1-line block ×5, first 2 shown]
	v_add_f64 v[52:53], v[44:45], v[77:78]
	v_add_f64 v[77:78], v[46:47], v[79:80]
	v_add_f64 v[48:49], v[48:49], -v[40:41]
	v_add_f64 v[79:80], v[40:41], -v[44:45]
	v_add_f64 v[44:45], v[44:45], -v[40:41]
	v_add_f64 v[87:88], v[42:43], -v[46:47]
	v_add_f64 v[89:90], v[46:47], -v[42:43]
	s_waitcnt vmcnt(6)
	v_add_f64 v[46:47], v[24:25], v[28:29]
	v_add_f64 v[40:41], v[40:41], v[52:53]
	;; [unrolled: 1-line block ×5, first 2 shown]
	s_waitcnt vmcnt(5)
	v_add_f64 v[91:92], v[20:21], v[32:33]
	v_add_f64 v[93:94], v[26:27], v[30:31]
	;; [unrolled: 1-line block ×3, first 2 shown]
	v_fma_f64 v[46:47], v[46:47], -0.5, v[36:37]
	v_add_f64 v[97:98], v[28:29], -v[32:33]
	v_add_f64 v[99:100], v[34:35], -v[30:31]
	v_add_f64 v[42:43], v[28:29], v[42:43]
	v_add_f64 v[52:53], v[30:31], v[52:53]
	v_fma_f64 v[36:37], v[91:92], -0.5, v[36:37]
	v_fma_f64 v[91:92], v[93:94], -0.5, v[38:39]
	;; [unrolled: 1-line block ×3, first 2 shown]
	v_add_f64 v[38:39], v[34:35], -v[22:23]
	v_add_f64 v[95:96], v[32:33], -v[28:29]
	;; [unrolled: 1-line block ×4, first 2 shown]
	v_add_f64 v[28:29], v[24:25], v[42:43]
	v_add_f64 v[34:35], v[26:27], v[52:53]
	s_waitcnt vmcnt(1)
	v_add_f64 v[52:53], v[4:5], v[8:9]
	s_waitcnt vmcnt(0)
	v_add_f64 v[107:108], v[0:1], v[12:13]
	v_add_f64 v[109:110], v[6:7], v[10:11]
	;; [unrolled: 1-line block ×5, first 2 shown]
	v_add_f64 v[32:33], v[32:33], -v[20:21]
	v_add_f64 v[30:31], v[30:31], -v[26:27]
	;; [unrolled: 1-line block ×6, first 2 shown]
	v_add_f64 v[20:21], v[20:21], v[28:29]
	v_add_f64 v[22:23], v[22:23], v[34:35]
	v_fma_f64 v[28:29], v[52:53], -0.5, v[16:17]
	v_fma_f64 v[16:17], v[107:108], -0.5, v[16:17]
	;; [unrolled: 1-line block ×4, first 2 shown]
	v_add_f64 v[18:19], v[8:9], v[113:114]
	v_add_f64 v[34:35], v[10:11], v[115:116]
	v_add_f64 v[52:53], v[14:15], -v[2:3]
	v_add_f64 v[111:112], v[12:13], -v[8:9]
	v_add_f64 v[113:114], v[8:9], -v[12:13]
	v_add_f64 v[115:116], v[12:13], -v[0:1]
	v_add_f64 v[117:118], v[14:15], -v[10:11]
	v_add_f64 v[119:120], v[10:11], -v[14:15]
	v_add_f64 v[12:13], v[4:5], v[18:19]
	v_add_f64 v[14:15], v[6:7], v[34:35]
	s_mov_b32 s0, 0x134454ff
	s_mov_b32 s1, 0x3fee6f0e
	;; [unrolled: 1-line block ×4, first 2 shown]
	v_add_f64 v[10:11], v[10:11], -v[6:7]
	v_add_f64 v[121:122], v[8:9], -v[4:5]
	;; [unrolled: 1-line block ×6, first 2 shown]
	v_add_f64 v[0:1], v[0:1], v[12:13]
	v_add_f64 v[127:128], v[2:3], v[14:15]
	v_fma_f64 v[6:7], v[73:74], s[0:1], v[69:70]
	v_fma_f64 v[12:13], v[50:51], s[6:7], v[56:57]
	;; [unrolled: 1-line block ×4, first 2 shown]
	s_mov_b32 s14, 0x4755a5e
	s_mov_b32 s15, 0x3fe2cf23
	;; [unrolled: 1-line block ×4, first 2 shown]
	v_add_f64 v[2:3], v[79:80], v[75:76]
	v_fma_f64 v[6:7], v[50:51], s[14:15], v[6:7]
	v_add_f64 v[34:35], v[44:45], v[81:82]
	v_fma_f64 v[12:13], v[73:74], s[14:15], v[12:13]
	v_fma_f64 v[14:15], v[73:74], s[16:17], v[14:15]
	v_fma_f64 v[18:19], v[50:51], s[16:17], v[18:19]
	s_mov_b32 s8, 0x372fe950
	s_mov_b32 s9, 0x3fd3c6ef
	v_fma_f64 v[50:51], v[30:31], s[6:7], v[36:37]
	v_fma_f64 v[6:7], v[2:3], s[8:9], v[6:7]
	;; [unrolled: 1-line block ×7, first 2 shown]
	v_add_f64 v[18:19], v[42:43], v[95:96]
	v_mad_u32_u24 v95, v64, 40, 0
	v_add_f64 v[24:25], v[24:25], v[97:98]
	v_fma_f64 v[42:43], v[38:39], s[14:15], v[50:51]
	ds_write2_b64 v95, v[40:41], v[6:7] offset1:1
	ds_write2_b64 v95, v[12:13], v[14:15] offset0:2 offset1:3
	ds_write_b64 v95, v[2:3] offset:32
	v_fma_f64 v[6:7], v[38:39], s[16:17], v[34:35]
	v_fma_f64 v[12:13], v[38:39], s[6:7], v[46:47]
	;; [unrolled: 1-line block ×6, first 2 shown]
	v_add_f64 v[8:9], v[8:9], v[111:112]
	v_add_f64 v[4:5], v[4:5], v[113:114]
	v_fma_f64 v[6:7], v[24:25], s[8:9], v[6:7]
	v_fma_f64 v[24:25], v[10:11], s[6:7], v[16:17]
	;; [unrolled: 1-line block ×8, first 2 shown]
	v_add_f64 v[56:57], v[87:88], v[83:84]
	v_fma_f64 v[24:25], v[52:53], s[14:15], v[24:25]
	v_fma_f64 v[16:17], v[52:53], s[16:17], v[16:17]
	;; [unrolled: 1-line block ×5, first 2 shown]
	v_mad_i32_i24 v36, v65, 40, 0
	ds_write2_b64 v36, v[20:21], v[2:3] offset1:1
	v_fma_f64 v[2:3], v[18:19], s[8:9], v[12:13]
	v_fma_f64 v[12:13], v[8:9], s[8:9], v[34:35]
	;; [unrolled: 1-line block ×7, first 2 shown]
	v_add_f64 v[73:74], v[89:90], v[85:86]
	v_fma_f64 v[69:70], v[48:49], s[16:17], v[69:70]
	v_fma_f64 v[47:48], v[48:49], s[14:15], v[58:59]
	v_mad_i32_i24 v37, v67, 40, 0
	ds_write2_b64 v36, v[14:15], v[6:7] offset0:2 offset1:3
	s_load_dwordx2 s[4:5], s[4:5], 0x0
	ds_write_b64 v36, v[2:3] offset:32
	ds_write2_b64 v37, v[0:1], v[12:13] offset1:1
	ds_write2_b64 v37, v[18:19], v[4:5] offset0:2 offset1:3
	ds_write_b64 v37, v[8:9] offset:32
	v_lshlrev_b32_e32 v0, 5, v64
	v_sub_u32_e32 v38, v95, v0
	v_add_u32_e32 v35, 0x5400, v38
	v_lshlrev_b32_e32 v40, 5, v65
	v_lshlrev_b32_e32 v41, 5, v67
	s_waitcnt lgkmcnt(0)
	s_barrier
	v_lshl_add_u32 v39, v66, 3, 0
	v_add_u32_e32 v34, 0x2a00, v38
	v_add_u32_e32 v45, 0x3800, v38
	v_sub_u32_e32 v42, v36, v40
	v_add_u32_e32 v46, 0x1c00, v38
	v_add_u32_e32 v44, 0x4600, v38
	v_sub_u32_e32 v43, v37, v41
	ds_read_b64 v[12:13], v38
	ds_read_b64 v[8:9], v43
	;; [unrolled: 1-line block ×4, first 2 shown]
	ds_read_b64 v[14:15], v38 offset:25200
	ds_read2_b64 v[18:21], v34 offset0:6 offset1:231
	ds_read2_b64 v[0:3], v45 offset0:8 offset1:233
	;; [unrolled: 1-line block ×5, first 2 shown]
	s_waitcnt lgkmcnt(0)
	v_fma_f64 v[54:55], v[54:55], s[14:15], v[71:72]
	s_barrier
	ds_write2_b64 v95, v[77:78], v[24:25] offset1:1
	v_fma_f64 v[24:25], v[32:33], s[6:7], v[91:92]
	v_fma_f64 v[58:59], v[32:33], s[0:1], v[91:92]
	v_fma_f64 v[69:70], v[73:74], s[8:9], v[69:70]
	v_fma_f64 v[47:48], v[73:74], s[8:9], v[47:48]
	v_fma_f64 v[71:72], v[103:104], s[0:1], v[93:94]
	v_fma_f64 v[73:74], v[103:104], s[6:7], v[93:94]
	v_fma_f64 v[77:78], v[115:116], s[6:7], v[107:108]
	v_fma_f64 v[75:76], v[121:122], s[0:1], v[109:110]
	v_fma_f64 v[79:80], v[121:122], s[6:7], v[109:110]
	v_fma_f64 v[81:82], v[115:116], s[0:1], v[107:108]
	v_fma_f64 v[54:55], v[56:57], s[8:9], v[54:55]
	v_add_f64 v[56:57], v[105:106], v[99:100]
	v_fma_f64 v[24:25], v[103:104], s[16:17], v[24:25]
	v_fma_f64 v[58:59], v[103:104], s[14:15], v[58:59]
	v_add_f64 v[26:27], v[26:27], v[101:102]
	v_fma_f64 v[71:72], v[32:33], s[16:17], v[71:72]
	v_fma_f64 v[32:33], v[32:33], s[14:15], v[73:74]
	v_add_f64 v[73:74], v[123:124], v[117:118]
	v_fma_f64 v[77:78], v[121:122], s[16:17], v[77:78]
	v_add_f64 v[83:84], v[125:126], v[119:120]
	v_fma_f64 v[75:76], v[115:116], s[16:17], v[75:76]
	v_fma_f64 v[79:80], v[115:116], s[14:15], v[79:80]
	v_fma_f64 v[81:82], v[121:122], s[14:15], v[81:82]
	v_fma_f64 v[24:25], v[56:57], s[8:9], v[24:25]
	v_fma_f64 v[56:57], v[56:57], s[8:9], v[58:59]
	v_fma_f64 v[58:59], v[26:27], s[8:9], v[71:72]
	v_fma_f64 v[26:27], v[26:27], s[8:9], v[32:33]
	v_fma_f64 v[71:72], v[73:74], s[8:9], v[77:78]
	v_fma_f64 v[32:33], v[83:84], s[8:9], v[75:76]
	v_fma_f64 v[75:76], v[83:84], s[8:9], v[79:80]
	v_fma_f64 v[73:74], v[73:74], s[8:9], v[81:82]
	s_movk_i32 s18, 0xcd
	ds_write2_b64 v95, v[69:70], v[47:48] offset0:2 offset1:3
	ds_write_b64 v95, v[54:55] offset:32
	ds_write2_b64 v36, v[22:23], v[24:25] offset1:1
	ds_write2_b64 v36, v[58:59], v[26:27] offset0:2 offset1:3
	ds_write_b64 v36, v[56:57] offset:32
	ds_write2_b64 v37, v[127:128], v[71:72] offset1:1
	ds_write2_b64 v37, v[32:33], v[75:76] offset0:2 offset1:3
	ds_write_b64 v37, v[73:74] offset:32
	v_mul_lo_u16_sdwa v22, v64, s18 dst_sel:DWORD dst_unused:UNUSED_PAD src0_sel:BYTE_0 src1_sel:DWORD
	v_lshrrev_b16_e32 v47, 10, v22
	v_mul_lo_u16_e32 v22, 5, v47
	s_mov_b32 s18, 0xcccd
	v_sub_u16_e32 v119, v64, v22
	v_mov_b32_e32 v48, 6
	v_mul_u32_u24_sdwa v27, v65, s18 dst_sel:DWORD dst_unused:UNUSED_PAD src0_sel:WORD_0 src1_sel:DWORD
	v_lshlrev_b32_sdwa v26, v48, v119 dst_sel:DWORD dst_unused:UNUSED_PAD src0_sel:DWORD src1_sel:BYTE_0
	v_lshrrev_b32_e32 v120, 18, v27
	s_waitcnt lgkmcnt(0)
	s_barrier
	global_load_dwordx4 v[22:25], v26, s[12:13] offset:16
	v_mul_lo_u16_e32 v27, 5, v120
	v_sub_u16_e32 v121, v65, v27
	v_lshlrev_b32_e32 v27, 6, v121
	global_load_dwordx4 v[54:57], v27, s[12:13] offset:16
	global_load_dwordx4 v[69:72], v26, s[12:13] offset:48
	;; [unrolled: 1-line block ×3, first 2 shown]
	global_load_dwordx4 v[77:80], v27, s[12:13]
	v_mul_u32_u24_sdwa v32, v67, s18 dst_sel:DWORD dst_unused:UNUSED_PAD src0_sel:WORD_0 src1_sel:DWORD
	v_lshrrev_b32_e32 v122, 18, v32
	v_mul_lo_u16_e32 v32, 5, v122
	v_sub_u16_e32 v49, v67, v32
	v_lshlrev_b32_e32 v32, 6, v49
	global_load_dwordx4 v[81:84], v32, s[12:13]
	global_load_dwordx4 v[85:88], v26, s[12:13] offset:32
	global_load_dwordx4 v[89:92], v32, s[12:13] offset:16
	global_load_dwordx4 v[93:96], v26, s[12:13]
	global_load_dwordx4 v[97:100], v27, s[12:13] offset:32
	global_load_dwordx4 v[101:104], v32, s[12:13] offset:32
	;; [unrolled: 1-line block ×3, first 2 shown]
	ds_read2_b64 v[109:112], v34 offset0:6 offset1:231
	ds_read2_b64 v[113:116], v35 offset0:12 offset1:237
	s_movk_i32 s18, 0x47af
	s_waitcnt vmcnt(11) lgkmcnt(1)
	v_mul_f64 v[26:27], v[109:110], v[24:25]
	v_mul_f64 v[24:25], v[18:19], v[24:25]
	s_waitcnt vmcnt(10)
	v_mul_f64 v[32:33], v[111:112], v[56:57]
	v_mul_f64 v[56:57], v[20:21], v[56:57]
	s_waitcnt vmcnt(9) lgkmcnt(0)
	v_mul_f64 v[58:59], v[113:114], v[71:72]
	v_mul_f64 v[71:72], v[28:29], v[71:72]
	v_fma_f64 v[117:118], v[18:19], v[22:23], -v[26:27]
	v_fma_f64 v[109:110], v[109:110], v[22:23], v[24:25]
	v_fma_f64 v[26:27], v[20:21], v[54:55], -v[32:33]
	v_fma_f64 v[24:25], v[111:112], v[54:55], v[56:57]
	ds_read2_b64 v[54:57], v46 offset0:4 offset1:229
	v_fma_f64 v[58:59], v[28:29], v[69:70], -v[58:59]
	s_waitcnt vmcnt(8)
	v_mul_f64 v[18:19], v[115:116], v[75:76]
	v_mul_f64 v[20:21], v[30:31], v[75:76]
	s_waitcnt vmcnt(7)
	v_mul_f64 v[75:76], v[50:51], v[79:80]
	s_waitcnt lgkmcnt(0)
	v_mul_f64 v[28:29], v[54:55], v[79:80]
	s_waitcnt vmcnt(6)
	v_mul_f64 v[79:80], v[56:57], v[83:84]
	v_mul_f64 v[83:84], v[52:53], v[83:84]
	v_fma_f64 v[111:112], v[113:114], v[69:70], v[71:72]
	ds_read2_b64 v[69:72], v45 offset0:8 offset1:233
	v_fma_f64 v[30:31], v[30:31], v[73:74], -v[18:19]
	v_fma_f64 v[22:23], v[115:116], v[73:74], v[20:21]
	v_fma_f64 v[32:33], v[50:51], v[77:78], -v[28:29]
	s_waitcnt vmcnt(5) lgkmcnt(0)
	v_mul_f64 v[113:114], v[71:72], v[87:88]
	v_fma_f64 v[18:19], v[56:57], v[81:82], v[83:84]
	ds_read_b64 v[56:57], v39
	v_fma_f64 v[28:29], v[54:55], v[77:78], v[75:76]
	v_fma_f64 v[20:21], v[52:53], v[81:82], -v[79:80]
	v_mul_f64 v[54:55], v[2:3], v[87:88]
	s_waitcnt vmcnt(4)
	v_mul_f64 v[73:74], v[69:70], v[91:92]
	s_waitcnt vmcnt(3) lgkmcnt(0)
	v_mul_f64 v[79:80], v[56:57], v[95:96]
	ds_read2_b64 v[50:53], v44 offset0:10 offset1:235
	ds_read_b64 v[75:76], v42
	ds_read_b64 v[77:78], v38 offset:25200
	v_fma_f64 v[2:3], v[2:3], v[85:86], -v[113:114]
	v_mul_f64 v[81:82], v[0:1], v[91:92]
	s_waitcnt vmcnt(2) lgkmcnt(2)
	v_mul_f64 v[83:84], v[50:51], v[99:100]
	s_waitcnt vmcnt(1)
	v_mul_f64 v[87:88], v[52:53], v[103:104]
	v_fma_f64 v[71:72], v[71:72], v[85:86], v[54:55]
	v_mul_f64 v[54:55], v[16:17], v[95:96]
	v_fma_f64 v[73:74], v[0:1], v[89:90], -v[73:74]
	v_fma_f64 v[0:1], v[16:17], v[93:94], -v[79:80]
	v_mul_f64 v[85:86], v[4:5], v[99:100]
	v_add_f64 v[16:17], v[117:118], v[2:3]
	v_fma_f64 v[79:80], v[69:70], v[89:90], v[81:82]
	v_fma_f64 v[81:82], v[4:5], v[97:98], -v[83:84]
	v_mul_f64 v[4:5], v[6:7], v[103:104]
	v_fma_f64 v[55:56], v[56:57], v[93:94], v[54:55]
	s_waitcnt vmcnt(0)
	v_mul_f64 v[89:90], v[14:15], v[107:108]
	v_add_f64 v[91:92], v[0:1], v[58:59]
	v_fma_f64 v[83:84], v[50:51], v[97:98], v[85:86]
	v_fma_f64 v[85:86], v[6:7], v[101:102], -v[87:88]
	v_add_f64 v[6:7], v[12:13], v[0:1]
	v_fma_f64 v[16:17], v[16:17], -0.5, v[12:13]
	v_add_f64 v[99:100], v[109:110], -v[71:72]
	v_add_f64 v[50:51], v[55:56], -v[111:112]
	v_fma_f64 v[101:102], v[52:53], v[101:102], v[4:5]
	v_fma_f64 v[4:5], v[91:92], -0.5, v[12:13]
	s_waitcnt lgkmcnt(0)
	v_mul_f64 v[87:88], v[77:78], v[107:108]
	v_add_f64 v[93:94], v[0:1], -v[117:118]
	v_add_f64 v[95:96], v[58:59], -v[2:3]
	v_add_f64 v[6:7], v[6:7], v[117:118]
	v_fma_f64 v[77:78], v[77:78], v[105:106], v[89:90]
	v_fma_f64 v[97:98], v[50:51], s[0:1], v[16:17]
	v_add_f64 v[52:53], v[117:118], -v[0:1]
	v_add_f64 v[89:90], v[2:3], -v[58:59]
	v_fma_f64 v[91:92], v[99:100], s[6:7], v[4:5]
	v_fma_f64 v[4:5], v[99:100], s[0:1], v[4:5]
	v_fma_f64 v[87:88], v[14:15], v[105:106], -v[87:88]
	v_add_f64 v[12:13], v[93:94], v[95:96]
	v_add_f64 v[6:7], v[6:7], v[2:3]
	v_fma_f64 v[14:15], v[99:100], s[14:15], v[97:98]
	v_fma_f64 v[16:17], v[50:51], s[6:7], v[16:17]
	v_add_f64 v[52:53], v[52:53], v[89:90]
	v_fma_f64 v[89:90], v[50:51], s[14:15], v[91:92]
	v_fma_f64 v[4:5], v[50:51], s[16:17], v[4:5]
	v_add_f64 v[50:51], v[26:27], v[81:82]
	v_add_f64 v[97:98], v[10:11], v[32:33]
	;; [unrolled: 1-line block ×3, first 2 shown]
	v_fma_f64 v[14:15], v[12:13], s[8:9], v[14:15]
	v_fma_f64 v[16:17], v[99:100], s[16:17], v[16:17]
	v_mul_u32_u24_e32 v54, 0xc8, v47
	v_fma_f64 v[89:90], v[52:53], s[8:9], v[89:90]
	v_fma_f64 v[4:5], v[52:53], s[8:9], v[4:5]
	v_add_f64 v[52:53], v[32:33], v[30:31]
	v_mov_b32_e32 v47, 3
	v_lshlrev_b32_sdwa v57, v47, v119 dst_sel:DWORD dst_unused:UNUSED_PAD src0_sel:DWORD src1_sel:BYTE_0
	v_add3_u32 v113, 0, v54, v57
	v_fma_f64 v[50:51], v[50:51], -0.5, v[10:11]
	v_add_f64 v[99:100], v[28:29], -v[22:23]
	ds_read_b64 v[69:70], v38
	ds_read_b64 v[91:92], v43
	s_waitcnt lgkmcnt(0)
	s_barrier
	ds_write2_b64 v113, v[6:7], v[14:15] offset1:5
	ds_write2_b64 v113, v[89:90], v[4:5] offset0:10 offset1:15
	v_fma_f64 v[4:5], v[12:13], s[8:9], v[16:17]
	v_add_f64 v[14:15], v[97:98], v[26:27]
	v_add_f64 v[93:94], v[32:33], -v[26:27]
	v_add_f64 v[95:96], v[30:31], -v[81:82]
	;; [unrolled: 1-line block ×3, first 2 shown]
	v_fma_f64 v[10:11], v[52:53], -0.5, v[10:11]
	v_fma_f64 v[16:17], v[99:100], s[0:1], v[50:51]
	v_add_f64 v[52:53], v[26:27], -v[32:33]
	ds_write_b64 v113, v[4:5] offset:160
	v_add_f64 v[4:5], v[14:15], v[81:82]
	v_fma_f64 v[14:15], v[99:100], s[6:7], v[50:51]
	v_add_f64 v[12:13], v[93:94], v[95:96]
	v_add_f64 v[89:90], v[81:82], -v[30:31]
	v_fma_f64 v[93:94], v[6:7], s[6:7], v[10:11]
	v_fma_f64 v[10:11], v[6:7], s[0:1], v[10:11]
	;; [unrolled: 1-line block ×3, first 2 shown]
	v_mul_u32_u24_e32 v54, 0xc8, v120
	v_add_f64 v[4:5], v[4:5], v[30:31]
	v_fma_f64 v[6:7], v[6:7], s[16:17], v[14:15]
	v_lshlrev_b32_e32 v57, 3, v121
	v_add_f64 v[50:51], v[52:53], v[89:90]
	v_fma_f64 v[52:53], v[99:100], s[14:15], v[93:94]
	v_fma_f64 v[10:11], v[99:100], s[16:17], v[10:11]
	;; [unrolled: 1-line block ×3, first 2 shown]
	v_add_f64 v[16:17], v[73:74], v[85:86]
	v_add3_u32 v114, 0, v54, v57
	v_fma_f64 v[6:7], v[12:13], s[8:9], v[6:7]
	v_add_f64 v[12:13], v[20:21], v[87:88]
	v_add_f64 v[93:94], v[8:9], v[20:21]
	v_fma_f64 v[52:53], v[50:51], s[8:9], v[52:53]
	v_fma_f64 v[10:11], v[50:51], s[8:9], v[10:11]
	v_add_f64 v[95:96], v[18:19], -v[77:78]
	v_fma_f64 v[16:17], v[16:17], -0.5, v[8:9]
	v_add_f64 v[50:51], v[20:21], -v[73:74]
	v_add_f64 v[89:90], v[87:88], -v[85:86]
	ds_write2_b64 v114, v[4:5], v[14:15] offset1:5
	ds_write2_b64 v114, v[52:53], v[10:11] offset0:10 offset1:15
	v_add_f64 v[14:15], v[79:80], -v[101:102]
	v_fma_f64 v[8:9], v[12:13], -0.5, v[8:9]
	v_add_f64 v[10:11], v[93:94], v[73:74]
	ds_write_b64 v114, v[6:7] offset:160
	v_fma_f64 v[6:7], v[95:96], s[0:1], v[16:17]
	v_add_f64 v[4:5], v[50:51], v[89:90]
	v_add_f64 v[12:13], v[73:74], -v[20:21]
	v_add_f64 v[50:51], v[85:86], -v[87:88]
	v_fma_f64 v[16:17], v[95:96], s[6:7], v[16:17]
	v_fma_f64 v[89:90], v[14:15], s[6:7], v[8:9]
	;; [unrolled: 1-line block ×3, first 2 shown]
	v_add_f64 v[10:11], v[10:11], v[85:86]
	v_add_f64 v[52:53], v[109:110], v[71:72]
	v_fma_f64 v[6:7], v[14:15], s[14:15], v[6:7]
	v_add_f64 v[93:94], v[0:1], -v[58:59]
	v_add_f64 v[12:13], v[12:13], v[50:51]
	v_fma_f64 v[14:15], v[14:15], s[16:17], v[16:17]
	v_fma_f64 v[50:51], v[95:96], s[14:15], v[89:90]
	;; [unrolled: 1-line block ×3, first 2 shown]
	v_add_f64 v[0:1], v[69:70], v[55:56]
	v_fma_f64 v[97:98], v[52:53], -0.5, v[69:70]
	v_add_f64 v[10:11], v[10:11], v[87:88]
	v_fma_f64 v[6:7], v[4:5], s[8:9], v[6:7]
	v_mul_u32_u24_e32 v54, 0xc8, v122
	v_fma_f64 v[4:5], v[4:5], s[8:9], v[14:15]
	v_fma_f64 v[50:51], v[12:13], s[8:9], v[50:51]
	;; [unrolled: 1-line block ×3, first 2 shown]
	v_lshlrev_b32_e32 v12, 3, v49
	v_add3_u32 v59, 0, v54, v12
	v_add_f64 v[89:90], v[117:118], -v[2:3]
	v_add_f64 v[2:3], v[55:56], -v[109:110]
	;; [unrolled: 1-line block ×3, first 2 shown]
	v_add_f64 v[0:1], v[0:1], v[109:110]
	v_fma_f64 v[52:53], v[93:94], s[6:7], v[97:98]
	ds_write2_b64 v59, v[10:11], v[6:7] offset1:5
	ds_write2_b64 v59, v[50:51], v[8:9] offset0:10 offset1:15
	ds_write_b64 v59, v[4:5] offset:160
	v_add_f64 v[4:5], v[55:56], v[111:112]
	v_add_f64 v[105:106], v[109:110], -v[55:56]
	v_add_f64 v[107:108], v[71:72], -v[111:112]
	v_fma_f64 v[97:98], v[93:94], s[0:1], v[97:98]
	v_add_f64 v[95:96], v[2:3], v[16:17]
	v_add_f64 v[0:1], v[0:1], v[71:72]
	v_fma_f64 v[2:3], v[89:90], s[16:17], v[52:53]
	s_waitcnt lgkmcnt(0)
	v_fma_f64 v[103:104], v[4:5], -0.5, v[69:70]
	s_barrier
	v_add_f64 v[105:106], v[105:106], v[107:108]
	v_add_f64 v[107:108], v[24:25], v[83:84]
	;; [unrolled: 1-line block ×3, first 2 shown]
	v_fma_f64 v[99:100], v[95:96], s[8:9], v[2:3]
	ds_read_b64 v[12:13], v38
	ds_read_b64 v[8:9], v43
	v_fma_f64 v[109:110], v[89:90], s[0:1], v[103:104]
	v_fma_f64 v[103:104], v[89:90], s[6:7], v[103:104]
	ds_read_b64 v[10:11], v42
	ds_read_b64 v[16:17], v39
	ds_read_b64 v[14:15], v38 offset:25200
	ds_read2_b64 v[51:54], v34 offset0:6 offset1:231
	ds_read2_b64 v[0:3], v45 offset0:8 offset1:233
	;; [unrolled: 1-line block ×5, first 2 shown]
	s_waitcnt lgkmcnt(0)
	s_barrier
	v_fma_f64 v[109:110], v[93:94], s[16:17], v[109:110]
	ds_write2_b64 v113, v[49:50], v[99:100] offset1:5
	v_fma_f64 v[49:50], v[93:94], s[14:15], v[103:104]
	v_add_f64 v[30:31], v[32:33], -v[30:31]
	v_add_f64 v[32:33], v[75:76], v[28:29]
	v_fma_f64 v[93:94], v[107:108], -0.5, v[75:76]
	v_fma_f64 v[89:90], v[89:90], s[14:15], v[97:98]
	v_add_f64 v[97:98], v[28:29], v[22:23]
	v_add_f64 v[103:104], v[28:29], -v[24:25]
	v_add_f64 v[107:108], v[22:23], -v[83:84]
	;; [unrolled: 1-line block ×4, first 2 shown]
	v_add_f64 v[32:33], v[32:33], v[24:25]
	v_fma_f64 v[81:82], v[30:31], s[6:7], v[93:94]
	v_fma_f64 v[93:94], v[30:31], s[0:1], v[93:94]
	v_fma_f64 v[75:76], v[97:98], -0.5, v[75:76]
	v_fma_f64 v[89:90], v[95:96], s[8:9], v[89:90]
	v_add_f64 v[95:96], v[103:104], v[107:108]
	v_add_f64 v[24:25], v[24:25], -v[28:29]
	v_add_f64 v[97:98], v[79:80], v[101:102]
	v_add_f64 v[28:29], v[32:33], v[83:84]
	v_fma_f64 v[32:33], v[26:27], s[16:17], v[81:82]
	v_add_f64 v[81:82], v[83:84], -v[22:23]
	v_fma_f64 v[83:84], v[26:27], s[14:15], v[93:94]
	v_fma_f64 v[93:94], v[26:27], s[0:1], v[75:76]
	;; [unrolled: 1-line block ×3, first 2 shown]
	v_add_f64 v[75:76], v[18:19], v[77:78]
	v_add_f64 v[73:74], v[73:74], -v[85:86]
	v_add_f64 v[22:23], v[28:29], v[22:23]
	v_fma_f64 v[28:29], v[95:96], s[8:9], v[32:33]
	v_add_f64 v[24:25], v[24:25], v[81:82]
	v_add_f64 v[32:33], v[91:92], v[18:19]
	v_fma_f64 v[81:82], v[97:98], -0.5, v[91:92]
	v_add_f64 v[87:88], v[18:19], -v[79:80]
	v_fma_f64 v[75:76], v[75:76], -0.5, v[91:92]
	v_add_f64 v[91:92], v[77:78], -v[101:102]
	v_fma_f64 v[85:86], v[30:31], s[16:17], v[93:94]
	v_add_f64 v[18:19], v[79:80], -v[18:19]
	v_fma_f64 v[26:27], v[30:31], s[14:15], v[26:27]
	v_add_f64 v[32:33], v[32:33], v[79:80]
	v_fma_f64 v[97:98], v[20:21], s[6:7], v[81:82]
	v_add_f64 v[79:80], v[101:102], -v[77:78]
	v_fma_f64 v[93:94], v[73:74], s[0:1], v[75:76]
	v_fma_f64 v[75:76], v[73:74], s[6:7], v[75:76]
	;; [unrolled: 1-line block ×3, first 2 shown]
	v_add_f64 v[30:31], v[87:88], v[91:92]
	v_fma_f64 v[99:100], v[105:106], s[8:9], v[109:110]
	v_add_f64 v[32:33], v[32:33], v[101:102]
	v_fma_f64 v[87:88], v[73:74], s[16:17], v[97:98]
	;; [unrolled: 2-line block ×3, first 2 shown]
	v_fma_f64 v[20:21], v[20:21], s[14:15], v[75:76]
	v_fma_f64 v[73:74], v[73:74], s[14:15], v[81:82]
	;; [unrolled: 1-line block ×6, first 2 shown]
	v_add_f64 v[26:27], v[32:33], v[77:78]
	v_fma_f64 v[77:78], v[30:31], s[8:9], v[87:88]
	v_fma_f64 v[32:33], v[18:19], s[8:9], v[79:80]
	v_fma_f64 v[18:19], v[18:19], s[8:9], v[20:21]
	v_fma_f64 v[20:21], v[30:31], s[8:9], v[73:74]
	ds_write2_b64 v113, v[99:100], v[49:50] offset0:10 offset1:15
	ds_write_b64 v113, v[89:90] offset:160
	ds_write2_b64 v114, v[22:23], v[28:29] offset1:5
	ds_write2_b64 v114, v[81:82], v[24:25] offset0:10 offset1:15
	ds_write_b64 v114, v[75:76] offset:160
	ds_write2_b64 v59, v[26:27], v[77:78] offset1:5
	ds_write2_b64 v59, v[32:33], v[18:19] offset0:10 offset1:15
	ds_write_b64 v59, v[20:21] offset:160
	v_mov_b32_e32 v18, 41
	v_mul_lo_u16_sdwa v18, v64, v18 dst_sel:DWORD dst_unused:UNUSED_PAD src0_sel:BYTE_0 src1_sel:DWORD
	v_mul_u32_u24_sdwa v22, v65, s18 dst_sel:DWORD dst_unused:UNUSED_PAD src0_sel:WORD_0 src1_sel:DWORD
	v_lshrrev_b16_e32 v59, 10, v18
	v_sub_u16_sdwa v23, v65, v22 dst_sel:DWORD dst_unused:UNUSED_PAD src0_sel:DWORD src1_sel:WORD_1
	v_mul_lo_u16_e32 v18, 25, v59
	v_lshrrev_b16_e32 v23, 1, v23
	v_sub_u16_e32 v121, v64, v18
	v_add_u16_sdwa v22, v23, v22 dst_sel:DWORD dst_unused:UNUSED_PAD src0_sel:DWORD src1_sel:WORD_1
	v_lshlrev_b32_sdwa v26, v48, v121 dst_sel:DWORD dst_unused:UNUSED_PAD src0_sel:DWORD src1_sel:BYTE_0
	v_lshrrev_b16_e32 v122, 4, v22
	s_waitcnt lgkmcnt(0)
	s_barrier
	global_load_dwordx4 v[18:21], v26, s[12:13] offset:336
	v_mul_lo_u16_e32 v22, 25, v122
	v_sub_u16_e32 v50, v65, v22
	v_lshlrev_b32_e32 v27, 6, v50
	global_load_dwordx4 v[22:25], v27, s[12:13] offset:336
	global_load_dwordx4 v[28:31], v26, s[12:13] offset:368
	;; [unrolled: 1-line block ×4, first 2 shown]
	v_mul_u32_u24_sdwa v32, v67, s18 dst_sel:DWORD dst_unused:UNUSED_PAD src0_sel:WORD_0 src1_sel:DWORD
	v_sub_u16_sdwa v33, v67, v32 dst_sel:DWORD dst_unused:UNUSED_PAD src0_sel:DWORD src1_sel:WORD_1
	v_lshrrev_b16_e32 v33, 1, v33
	v_add_u16_sdwa v32, v33, v32 dst_sel:DWORD dst_unused:UNUSED_PAD src0_sel:DWORD src1_sel:WORD_1
	v_lshrrev_b16_e32 v48, 4, v32
	v_mul_lo_u16_e32 v32, 25, v48
	v_sub_u16_e32 v49, v67, v32
	v_lshlrev_b32_e32 v32, 6, v49
	global_load_dwordx4 v[81:84], v32, s[12:13] offset:320
	global_load_dwordx4 v[85:88], v26, s[12:13] offset:352
	;; [unrolled: 1-line block ×7, first 2 shown]
	ds_read2_b64 v[109:112], v34 offset0:6 offset1:231
	ds_read2_b64 v[113:116], v35 offset0:12 offset1:237
	v_mul_u32_u24_e32 v59, 0x3e8, v59
	v_lshlrev_b32_e32 v50, 3, v50
	s_waitcnt vmcnt(11) lgkmcnt(1)
	v_mul_f64 v[26:27], v[109:110], v[20:21]
	v_mul_f64 v[20:21], v[51:52], v[20:21]
	s_waitcnt vmcnt(10)
	v_mul_f64 v[32:33], v[111:112], v[24:25]
	v_mul_f64 v[24:25], v[53:54], v[24:25]
	s_waitcnt vmcnt(9) lgkmcnt(0)
	v_mul_f64 v[117:118], v[113:114], v[30:31]
	v_fma_f64 v[119:120], v[51:52], v[18:19], -v[26:27]
	v_fma_f64 v[34:35], v[109:110], v[18:19], v[20:21]
	v_fma_f64 v[26:27], v[53:54], v[22:23], -v[32:33]
	v_fma_f64 v[24:25], v[111:112], v[22:23], v[24:25]
	ds_read2_b64 v[51:54], v46 offset0:4 offset1:229
	v_mul_f64 v[18:19], v[55:56], v[30:31]
	ds_read2_b64 v[109:112], v45 offset0:8 offset1:233
	s_waitcnt vmcnt(7)
	v_mul_f64 v[45:46], v[69:70], v[79:80]
	v_mul_f64 v[20:21], v[115:116], v[75:76]
	v_fma_f64 v[55:56], v[55:56], v[28:29], -v[117:118]
	v_mul_f64 v[22:23], v[57:58], v[75:76]
	s_waitcnt lgkmcnt(1)
	v_mul_f64 v[32:33], v[51:52], v[79:80]
	s_waitcnt vmcnt(6)
	v_mul_f64 v[75:76], v[53:54], v[83:84]
	v_mul_f64 v[79:80], v[71:72], v[83:84]
	v_fma_f64 v[83:84], v[113:114], v[28:29], v[18:19]
	s_waitcnt vmcnt(5) lgkmcnt(0)
	v_mul_f64 v[113:114], v[111:112], v[87:88]
	v_fma_f64 v[28:29], v[51:52], v[77:78], v[45:46]
	v_mul_f64 v[45:46], v[2:3], v[87:88]
	v_fma_f64 v[30:31], v[57:58], v[73:74], -v[20:21]
	ds_read_b64 v[57:58], v39
	v_fma_f64 v[22:23], v[115:116], v[73:74], v[22:23]
	v_fma_f64 v[32:33], v[69:70], v[77:78], -v[32:33]
	v_fma_f64 v[20:21], v[71:72], v[81:82], -v[75:76]
	v_fma_f64 v[18:19], v[53:54], v[81:82], v[79:80]
	v_fma_f64 v[2:3], v[2:3], v[85:86], -v[113:114]
	s_waitcnt vmcnt(4)
	v_mul_f64 v[69:70], v[109:110], v[91:92]
	ds_read2_b64 v[51:54], v44 offset0:10 offset1:235
	ds_read_b64 v[77:78], v42
	ds_read_b64 v[71:72], v38 offset:25200
	s_waitcnt vmcnt(3) lgkmcnt(3)
	v_mul_f64 v[73:74], v[57:58], v[95:96]
	v_fma_f64 v[75:76], v[111:112], v[85:86], v[45:46]
	v_mul_f64 v[44:45], v[16:17], v[95:96]
	v_mul_f64 v[79:80], v[0:1], v[91:92]
	s_waitcnt vmcnt(2) lgkmcnt(2)
	v_mul_f64 v[81:82], v[51:52], v[99:100]
	s_waitcnt vmcnt(1)
	v_mul_f64 v[87:88], v[53:54], v[103:104]
	v_fma_f64 v[91:92], v[0:1], v[89:90], -v[69:70]
	v_mul_f64 v[85:86], v[4:5], v[99:100]
	v_fma_f64 v[0:1], v[16:17], v[93:94], -v[73:74]
	v_add_f64 v[16:17], v[119:120], v[2:3]
	v_fma_f64 v[57:58], v[57:58], v[93:94], v[44:45]
	v_fma_f64 v[79:80], v[109:110], v[89:90], v[79:80]
	v_fma_f64 v[81:82], v[4:5], v[97:98], -v[81:82]
	v_fma_f64 v[87:88], v[6:7], v[101:102], -v[87:88]
	v_mul_f64 v[4:5], v[6:7], v[103:104]
	v_fma_f64 v[85:86], v[51:52], v[97:98], v[85:86]
	v_add_f64 v[6:7], v[12:13], v[0:1]
	v_fma_f64 v[16:17], v[16:17], -0.5, v[12:13]
	v_add_f64 v[44:45], v[57:58], -v[83:84]
	v_add_f64 v[89:90], v[0:1], v[55:56]
	s_waitcnt vmcnt(0) lgkmcnt(0)
	v_mul_f64 v[69:70], v[71:72], v[107:108]
	v_mul_f64 v[73:74], v[14:15], v[107:108]
	v_add_f64 v[93:94], v[0:1], -v[119:120]
	v_add_f64 v[95:96], v[55:56], -v[2:3]
	v_add_f64 v[6:7], v[6:7], v[119:120]
	v_add_f64 v[99:100], v[34:35], -v[75:76]
	v_fma_f64 v[97:98], v[44:45], s[0:1], v[16:17]
	v_fma_f64 v[101:102], v[53:54], v[101:102], v[4:5]
	v_fma_f64 v[4:5], v[89:90], -0.5, v[12:13]
	v_fma_f64 v[103:104], v[14:15], v[105:106], -v[69:70]
	v_fma_f64 v[89:90], v[71:72], v[105:106], v[73:74]
	v_add_f64 v[12:13], v[93:94], v[95:96]
	v_lshlrev_b32_sdwa v71, v47, v121 dst_sel:DWORD dst_unused:UNUSED_PAD src0_sel:DWORD src1_sel:BYTE_0
	v_add_f64 v[6:7], v[6:7], v[2:3]
	v_fma_f64 v[14:15], v[99:100], s[14:15], v[97:98]
	v_add_f64 v[46:47], v[119:120], -v[0:1]
	v_add_f64 v[53:54], v[2:3], -v[55:56]
	v_fma_f64 v[69:70], v[99:100], s[6:7], v[4:5]
	v_fma_f64 v[4:5], v[99:100], s[0:1], v[4:5]
	;; [unrolled: 1-line block ×3, first 2 shown]
	v_add3_u32 v111, 0, v59, v71
	v_add_f64 v[6:7], v[6:7], v[55:56]
	v_fma_f64 v[14:15], v[12:13], s[8:9], v[14:15]
	ds_read_b64 v[51:52], v38
	ds_read_b64 v[93:94], v43
	v_add_f64 v[46:47], v[46:47], v[53:54]
	v_fma_f64 v[53:54], v[44:45], s[14:15], v[69:70]
	v_fma_f64 v[4:5], v[44:45], s[16:17], v[4:5]
	v_add_f64 v[44:45], v[26:27], v[81:82]
	s_waitcnt lgkmcnt(0)
	s_barrier
	ds_write2_b64 v111, v[6:7], v[14:15] offset1:25
	v_add_f64 v[14:15], v[32:33], v[30:31]
	v_fma_f64 v[6:7], v[46:47], s[8:9], v[53:54]
	v_fma_f64 v[4:5], v[46:47], s[8:9], v[4:5]
	;; [unrolled: 1-line block ×3, first 2 shown]
	v_add_f64 v[46:47], v[10:11], v[32:33]
	v_fma_f64 v[44:45], v[44:45], -0.5, v[10:11]
	v_add_f64 v[53:54], v[28:29], -v[22:23]
	v_add_f64 v[69:70], v[32:33], -v[26:27]
	;; [unrolled: 1-line block ×3, first 2 shown]
	v_fma_f64 v[10:11], v[14:15], -0.5, v[10:11]
	v_add_f64 v[14:15], v[30:31], -v[81:82]
	v_fma_f64 v[12:13], v[12:13], s[8:9], v[16:17]
	ds_write2_b64 v111, v[6:7], v[4:5] offset0:50 offset1:75
	v_add_f64 v[4:5], v[46:47], v[26:27]
	v_fma_f64 v[6:7], v[53:54], s[0:1], v[44:45]
	v_add_f64 v[16:17], v[26:27], -v[32:33]
	v_add_f64 v[46:47], v[81:82], -v[30:31]
	v_fma_f64 v[73:74], v[71:72], s[6:7], v[10:11]
	v_add_f64 v[14:15], v[69:70], v[14:15]
	ds_write_b64 v111, v[12:13] offset:800
	v_fma_f64 v[10:11], v[71:72], s[0:1], v[10:11]
	v_add_f64 v[4:5], v[4:5], v[81:82]
	v_fma_f64 v[6:7], v[71:72], s[14:15], v[6:7]
	v_fma_f64 v[44:45], v[53:54], s[6:7], v[44:45]
	v_add_f64 v[12:13], v[16:17], v[46:47]
	v_add_f64 v[46:47], v[91:92], v[87:88]
	v_fma_f64 v[16:17], v[53:54], s[14:15], v[73:74]
	v_mul_u32_u24_e32 v59, 0x3e8, v122
	v_fma_f64 v[10:11], v[53:54], s[16:17], v[10:11]
	v_add_f64 v[4:5], v[4:5], v[30:31]
	v_fma_f64 v[6:7], v[14:15], s[8:9], v[6:7]
	v_fma_f64 v[44:45], v[71:72], s[16:17], v[44:45]
	v_add_f64 v[53:54], v[18:19], -v[89:90]
	v_fma_f64 v[46:47], v[46:47], -0.5, v[8:9]
	v_add3_u32 v112, 0, v59, v50
	v_add_f64 v[69:70], v[20:21], v[103:104]
	v_add_f64 v[95:96], v[0:1], -v[55:56]
	v_add_f64 v[0:1], v[51:52], v[57:58]
	ds_write2_b64 v112, v[4:5], v[6:7] offset1:25
	v_fma_f64 v[4:5], v[14:15], s[8:9], v[44:45]
	v_add_f64 v[14:15], v[79:80], -v[101:102]
	v_fma_f64 v[6:7], v[53:54], s[0:1], v[46:47]
	v_fma_f64 v[16:17], v[12:13], s[8:9], v[16:17]
	;; [unrolled: 1-line block ×3, first 2 shown]
	v_add_f64 v[73:74], v[8:9], v[20:21]
	v_fma_f64 v[8:9], v[69:70], -0.5, v[8:9]
	v_add_f64 v[0:1], v[0:1], v[34:35]
	ds_write_b64 v112, v[4:5] offset:800
	v_add_f64 v[12:13], v[20:21], -v[91:92]
	v_fma_f64 v[4:5], v[14:15], s[14:15], v[6:7]
	v_add_f64 v[6:7], v[34:35], v[75:76]
	v_add_f64 v[71:72], v[103:104], -v[87:88]
	ds_write2_b64 v112, v[16:17], v[10:11] offset0:50 offset1:75
	v_add_f64 v[16:17], v[91:92], -v[20:21]
	v_add_f64 v[44:45], v[87:88], -v[103:104]
	v_fma_f64 v[69:70], v[14:15], s[6:7], v[8:9]
	v_fma_f64 v[8:9], v[14:15], s[0:1], v[8:9]
	;; [unrolled: 1-line block ×3, first 2 shown]
	v_fma_f64 v[97:98], v[6:7], -0.5, v[51:52]
	v_add_f64 v[0:1], v[0:1], v[75:76]
	v_add_f64 v[10:11], v[12:13], v[71:72]
	v_add_f64 v[12:13], v[73:74], v[91:92]
	v_add_f64 v[16:17], v[16:17], v[44:45]
	v_fma_f64 v[6:7], v[53:54], s[14:15], v[69:70]
	v_fma_f64 v[8:9], v[53:54], s[16:17], v[8:9]
	;; [unrolled: 1-line block ×3, first 2 shown]
	v_add_f64 v[99:100], v[119:120], -v[2:3]
	v_add_f64 v[2:3], v[57:58], -v[34:35]
	;; [unrolled: 1-line block ×3, first 2 shown]
	v_fma_f64 v[46:47], v[95:96], s[6:7], v[97:98]
	v_add_f64 v[105:106], v[0:1], v[83:84]
	v_add_f64 v[0:1], v[57:58], v[83:84]
	v_add_f64 v[34:35], v[34:35], -v[57:58]
	v_add_f64 v[58:59], v[75:76], -v[83:84]
	v_add_f64 v[12:13], v[12:13], v[87:88]
	v_fma_f64 v[4:5], v[10:11], s[8:9], v[4:5]
	v_fma_f64 v[6:7], v[16:17], s[8:9], v[6:7]
	;; [unrolled: 1-line block ×4, first 2 shown]
	v_add_f64 v[15:16], v[2:3], v[44:45]
	v_fma_f64 v[2:3], v[99:100], s[16:17], v[46:47]
	v_fma_f64 v[109:110], v[0:1], -0.5, v[51:52]
	v_add_f64 v[34:35], v[34:35], v[58:59]
	v_add_f64 v[58:59], v[24:25], v[85:86]
	v_fma_f64 v[97:98], v[95:96], s[0:1], v[97:98]
	v_add_f64 v[12:13], v[12:13], v[103:104]
	v_add_f64 v[30:31], v[32:33], -v[30:31]
	v_add_f64 v[32:33], v[77:78], v[28:29]
	v_fma_f64 v[107:108], v[15:16], s[8:9], v[2:3]
	v_fma_f64 v[83:84], v[99:100], s[0:1], v[109:110]
	;; [unrolled: 1-line block ×3, first 2 shown]
	v_fma_f64 v[58:59], v[58:59], -0.5, v[77:78]
	v_fma_f64 v[97:98], v[99:100], s[14:15], v[97:98]
	v_add_f64 v[99:100], v[28:29], v[22:23]
	v_mul_u32_u24_e32 v14, 0x3e8, v48
	v_lshlrev_b32_e32 v17, 3, v49
	v_add3_u32 v113, 0, v14, v17
	v_add_u32_e32 v46, 0x4d00, v38
	v_add_u32_e32 v47, 0x3100, v38
	ds_write2_b64 v113, v[12:13], v[4:5] offset1:25
	ds_write2_b64 v113, v[6:7], v[8:9] offset0:50 offset1:75
	ds_write_b64 v113, v[10:11] offset:800
	s_waitcnt lgkmcnt(0)
	s_barrier
	v_add_u32_e32 v44, 0x2300, v38
	v_add_u32_e32 v48, 0x3f00, v38
	v_add_u32_e32 v49, 0x5b00, v38
	v_lshl_add_u32 v45, v68, 3, 0
	ds_read_b64 v[4:5], v43
	ds_read_b64 v[8:9], v38
	;; [unrolled: 1-line block ×5, first 2 shown]
	ds_read2_b64 v[11:14], v44 offset0:5 offset1:230
	ds_read2_b64 v[50:53], v48 offset0:9 offset1:234
	;; [unrolled: 1-line block ×5, first 2 shown]
	s_waitcnt lgkmcnt(0)
	s_barrier
	v_fma_f64 v[83:84], v[95:96], s[16:17], v[83:84]
	ds_write2_b64 v111, v[105:106], v[107:108] offset1:25
	v_fma_f64 v[95:96], v[95:96], s[14:15], v[109:110]
	v_add_f64 v[105:106], v[28:29], -v[24:25]
	v_add_f64 v[107:108], v[22:23], -v[85:86]
	;; [unrolled: 1-line block ×3, first 2 shown]
	v_add_f64 v[32:33], v[32:33], v[24:25]
	v_fma_f64 v[81:82], v[30:31], s[6:7], v[58:59]
	v_fma_f64 v[58:59], v[30:31], s[0:1], v[58:59]
	v_fma_f64 v[77:78], v[99:100], -0.5, v[77:78]
	v_fma_f64 v[83:84], v[34:35], s[8:9], v[83:84]
	v_fma_f64 v[34:35], v[34:35], s[8:9], v[95:96]
	;; [unrolled: 1-line block ×3, first 2 shown]
	v_add_f64 v[95:96], v[105:106], v[107:108]
	v_add_f64 v[24:25], v[24:25], -v[28:29]
	v_add_f64 v[28:29], v[32:33], v[85:86]
	v_fma_f64 v[32:33], v[26:27], s[16:17], v[81:82]
	v_add_f64 v[81:82], v[85:86], -v[22:23]
	v_fma_f64 v[58:59], v[26:27], s[14:15], v[58:59]
	v_fma_f64 v[85:86], v[26:27], s[0:1], v[77:78]
	;; [unrolled: 1-line block ×3, first 2 shown]
	v_add_f64 v[77:78], v[18:19], v[89:90]
	v_add_f64 v[97:98], v[79:80], v[101:102]
	;; [unrolled: 1-line block ×3, first 2 shown]
	v_fma_f64 v[28:29], v[95:96], s[8:9], v[32:33]
	v_add_f64 v[24:25], v[24:25], v[81:82]
	v_add_f64 v[32:33], v[93:94], v[18:19]
	v_add_f64 v[20:21], v[20:21], -v[103:104]
	v_add_f64 v[81:82], v[91:92], -v[87:88]
	v_fma_f64 v[77:78], v[77:78], -0.5, v[93:94]
	v_fma_f64 v[87:88], v[97:98], -0.5, v[93:94]
	v_add_f64 v[91:92], v[18:19], -v[79:80]
	v_add_f64 v[93:94], v[89:90], -v[101:102]
	v_add_f64 v[17:18], v[79:80], -v[18:19]
	v_add_f64 v[32:33], v[32:33], v[79:80]
	v_add_f64 v[79:80], v[101:102], -v[89:90]
	v_fma_f64 v[85:86], v[30:31], s[16:17], v[85:86]
	v_fma_f64 v[97:98], v[81:82], s[0:1], v[77:78]
	;; [unrolled: 1-line block ×6, first 2 shown]
	v_add_f64 v[30:31], v[91:92], v[93:94]
	v_add_f64 v[32:33], v[32:33], v[101:102]
	;; [unrolled: 1-line block ×3, first 2 shown]
	v_fma_f64 v[79:80], v[20:21], s[16:17], v[97:98]
	v_fma_f64 v[91:92], v[81:82], s[16:17], v[99:100]
	;; [unrolled: 1-line block ×7, first 2 shown]
	v_add_f64 v[26:27], v[32:33], v[89:90]
	v_fma_f64 v[32:33], v[17:18], s[8:9], v[79:80]
	v_fma_f64 v[79:80], v[30:31], s[8:9], v[91:92]
	s_movk_i32 s0, 0x7d
	v_fma_f64 v[17:18], v[17:18], s[8:9], v[19:20]
	v_add_u32_e32 v10, 0xffffff83, v64
	v_cmp_gt_u32_e64 s[0:1], s0, v64
	v_fma_f64 v[19:20], v[30:31], s[8:9], v[77:78]
	v_cndmask_b32_e64 v109, v10, v64, s[0:1]
	ds_write2_b64 v111, v[83:84], v[34:35] offset0:50 offset1:75
	ds_write_b64 v111, v[15:16] offset:800
	ds_write2_b64 v112, v[22:23], v[28:29] offset1:25
	ds_write2_b64 v112, v[81:82], v[24:25] offset0:50 offset1:75
	ds_write_b64 v112, v[58:59] offset:800
	ds_write2_b64 v113, v[26:27], v[79:80] offset1:25
	ds_write2_b64 v113, v[32:33], v[17:18] offset0:50 offset1:75
	ds_write_b64 v113, v[19:20] offset:800
	v_lshlrev_b32_e32 v20, 1, v109
	v_mov_b32_e32 v21, 0
	v_lshlrev_b64 v[15:16], 4, v[20:21]
	v_mov_b32_e32 v10, s13
	v_add_co_u32_e64 v19, s[0:1], s12, v15
	v_addc_co_u32_e64 v20, s[0:1], v10, v16, s[0:1]
	s_movk_i32 s0, 0x625
	v_mul_u32_u24_sdwa v22, v65, s0 dst_sel:DWORD dst_unused:UNUSED_PAD src0_sel:WORD_0 src1_sel:DWORD
	v_sub_u16_sdwa v23, v65, v22 dst_sel:DWORD dst_unused:UNUSED_PAD src0_sel:DWORD src1_sel:WORD_1
	v_lshrrev_b16_e32 v23, 1, v23
	v_add_u16_sdwa v22, v23, v22 dst_sel:DWORD dst_unused:UNUSED_PAD src0_sel:DWORD src1_sel:WORD_1
	v_lshrrev_b16_e32 v110, 6, v22
	v_mul_lo_u16_e32 v22, 0x7d, v110
	v_sub_u16_e32 v111, v65, v22
	s_waitcnt lgkmcnt(0)
	s_barrier
	global_load_dwordx4 v[15:18], v[19:20], off offset:1920
	v_lshlrev_b32_e32 v30, 5, v111
	global_load_dwordx4 v[22:25], v30, s[12:13] offset:1920
	global_load_dwordx4 v[26:29], v30, s[12:13] offset:1936
	v_mul_u32_u24_sdwa v30, v67, s0 dst_sel:DWORD dst_unused:UNUSED_PAD src0_sel:WORD_0 src1_sel:DWORD
	v_sub_u16_sdwa v31, v67, v30 dst_sel:DWORD dst_unused:UNUSED_PAD src0_sel:DWORD src1_sel:WORD_1
	v_lshrrev_b16_e32 v31, 1, v31
	v_add_u16_sdwa v30, v31, v30 dst_sel:DWORD dst_unused:UNUSED_PAD src0_sel:DWORD src1_sel:WORD_1
	v_lshrrev_b16_e32 v112, 6, v30
	v_mul_lo_u16_e32 v30, 0x7d, v112
	v_sub_u16_e32 v113, v67, v30
	v_lshlrev_b32_e32 v34, 5, v113
	global_load_dwordx4 v[30:33], v34, s[12:13] offset:1936
	global_load_dwordx4 v[77:80], v34, s[12:13] offset:1920
	v_mul_u32_u24_sdwa v34, v66, s0 dst_sel:DWORD dst_unused:UNUSED_PAD src0_sel:WORD_0 src1_sel:DWORD
	v_sub_u16_sdwa v35, v66, v34 dst_sel:DWORD dst_unused:UNUSED_PAD src0_sel:DWORD src1_sel:WORD_1
	v_lshrrev_b16_e32 v35, 1, v35
	v_add_u16_sdwa v34, v35, v34 dst_sel:DWORD dst_unused:UNUSED_PAD src0_sel:DWORD src1_sel:WORD_1
	v_lshrrev_b16_e32 v114, 6, v34
	v_mul_lo_u16_e32 v34, 0x7d, v114
	v_sub_u16_e32 v115, v66, v34
	v_lshlrev_b32_e32 v34, 5, v115
	global_load_dwordx4 v[81:84], v34, s[12:13] offset:1920
	global_load_dwordx4 v[85:88], v[19:20], off offset:1936
	v_mul_u32_u24_sdwa v19, v68, s0 dst_sel:DWORD dst_unused:UNUSED_PAD src0_sel:WORD_0 src1_sel:DWORD
	v_sub_u16_sdwa v20, v68, v19 dst_sel:DWORD dst_unused:UNUSED_PAD src0_sel:DWORD src1_sel:WORD_1
	v_lshrrev_b16_e32 v20, 1, v20
	v_add_u16_sdwa v19, v20, v19 dst_sel:DWORD dst_unused:UNUSED_PAD src0_sel:DWORD src1_sel:WORD_1
	v_lshrrev_b16_e32 v116, 6, v19
	v_mul_lo_u16_e32 v19, 0x7d, v116
	v_sub_u16_e32 v117, v68, v19
	v_lshlrev_b32_e32 v19, 5, v117
	global_load_dwordx4 v[89:92], v19, s[12:13] offset:1920
	global_load_dwordx4 v[93:96], v34, s[12:13] offset:1936
	;; [unrolled: 1-line block ×3, first 2 shown]
	ds_read2_b64 v[101:104], v44 offset0:5 offset1:230
	s_movk_i32 s0, 0x7c
	v_cmp_lt_u32_e64 s[0:1], s0, v64
	s_mov_b32 s6, 0xe8584caa
	s_mov_b32 s7, 0x3febb67a
	;; [unrolled: 1-line block ×4, first 2 shown]
	s_movk_i32 s14, 0x1000
	s_movk_i32 s15, 0x1720
	;; [unrolled: 1-line block ×4, first 2 shown]
	s_waitcnt vmcnt(9) lgkmcnt(0)
	v_mul_f64 v[34:35], v[101:102], v[17:18]
	v_mul_f64 v[58:59], v[11:12], v[17:18]
	s_waitcnt vmcnt(8)
	v_mul_f64 v[105:106], v[103:104], v[24:25]
	v_mul_f64 v[24:25], v[13:14], v[24:25]
	ds_read2_b64 v[17:20], v46 offset0:11 offset1:236
	v_fma_f64 v[34:35], v[11:12], v[15:16], -v[34:35]
	v_fma_f64 v[58:59], v[101:102], v[15:16], v[58:59]
	s_waitcnt vmcnt(7) lgkmcnt(0)
	v_mul_f64 v[15:16], v[17:18], v[28:29]
	v_fma_f64 v[101:102], v[13:14], v[22:23], -v[105:106]
	v_fma_f64 v[103:104], v[103:104], v[22:23], v[24:25]
	v_mul_f64 v[22:23], v[54:55], v[28:29]
	ds_read2_b64 v[11:14], v47 offset0:7 offset1:232
	s_waitcnt vmcnt(6)
	v_mul_f64 v[24:25], v[19:20], v[32:33]
	v_mul_f64 v[28:29], v[56:57], v[32:33]
	v_fma_f64 v[54:55], v[54:55], v[26:27], -v[15:16]
	s_waitcnt vmcnt(5) lgkmcnt(0)
	v_mul_f64 v[32:33], v[11:12], v[79:80]
	v_mul_f64 v[79:80], v[69:70], v[79:80]
	s_waitcnt vmcnt(4)
	v_mul_f64 v[105:106], v[13:14], v[83:84]
	v_mul_f64 v[83:84], v[71:72], v[83:84]
	v_fma_f64 v[107:108], v[17:18], v[26:27], v[22:23]
	ds_read2_b64 v[15:18], v48 offset0:9 offset1:234
	v_fma_f64 v[56:57], v[56:57], v[30:31], -v[24:25]
	v_fma_f64 v[19:20], v[19:20], v[30:31], v[28:29]
	v_fma_f64 v[30:31], v[69:70], v[77:78], -v[32:33]
	v_fma_f64 v[32:33], v[11:12], v[77:78], v[79:80]
	s_waitcnt vmcnt(3) lgkmcnt(0)
	v_mul_f64 v[22:23], v[17:18], v[87:88]
	v_fma_f64 v[69:70], v[71:72], v[81:82], -v[105:106]
	v_fma_f64 v[71:72], v[13:14], v[81:82], v[83:84]
	ds_read2_b64 v[11:14], v49 offset0:13 offset1:238
	v_mul_f64 v[24:25], v[52:53], v[87:88]
	s_waitcnt vmcnt(1)
	v_mul_f64 v[79:80], v[73:74], v[95:96]
	s_waitcnt vmcnt(0)
	v_mul_f64 v[83:84], v[75:76], v[99:100]
	v_mul_f64 v[28:29], v[50:51], v[91:92]
	s_waitcnt lgkmcnt(0)
	v_mul_f64 v[77:78], v[11:12], v[95:96]
	v_fma_f64 v[22:23], v[52:53], v[85:86], -v[22:23]
	v_mul_f64 v[81:82], v[13:14], v[99:100]
	v_mul_f64 v[26:27], v[15:16], v[91:92]
	v_fma_f64 v[17:18], v[17:18], v[85:86], v[24:25]
	v_fma_f64 v[87:88], v[15:16], v[89:90], v[28:29]
	v_fma_f64 v[73:74], v[73:74], v[93:94], -v[77:78]
	v_fma_f64 v[77:78], v[11:12], v[93:94], v[79:80]
	v_fma_f64 v[79:80], v[13:14], v[97:98], v[83:84]
	v_add_f64 v[11:12], v[34:35], v[22:23]
	v_add_f64 v[13:14], v[8:9], v[34:35]
	v_mov_b32_e32 v15, 0xbb8
	v_cndmask_b32_e64 v15, 0, v15, s[0:1]
	v_lshlrev_b32_e32 v16, 3, v109
	v_fma_f64 v[75:76], v[75:76], v[97:98], -v[81:82]
	v_add3_u32 v97, 0, v15, v16
	v_add_f64 v[15:16], v[101:102], v[54:55]
	v_fma_f64 v[8:9], v[11:12], -0.5, v[8:9]
	v_add_f64 v[11:12], v[13:14], v[22:23]
	v_add_f64 v[13:14], v[58:59], -v[17:18]
	v_fma_f64 v[85:86], v[50:51], v[89:90], -v[26:27]
	v_add_f64 v[28:29], v[30:31], v[56:57]
	ds_read_b64 v[81:82], v43
	ds_read_b64 v[24:25], v38
	;; [unrolled: 1-line block ×5, first 2 shown]
	s_waitcnt lgkmcnt(0)
	s_barrier
	v_fma_f64 v[26:27], v[13:14], s[6:7], v[8:9]
	v_fma_f64 v[8:9], v[13:14], s[8:9], v[8:9]
	v_fma_f64 v[13:14], v[15:16], -0.5, v[6:7]
	v_add_f64 v[6:7], v[6:7], v[101:102]
	v_add_f64 v[15:16], v[103:104], -v[107:108]
	ds_write2_b64 v97, v[11:12], v[26:27] offset1:125
	ds_write_b64 v97, v[8:9] offset:2000
	v_add_f64 v[26:27], v[69:70], v[73:74]
	v_add_f64 v[34:35], v[34:35], -v[22:23]
	v_add_f64 v[6:7], v[6:7], v[54:55]
	v_fma_f64 v[8:9], v[15:16], s[6:7], v[13:14]
	v_fma_f64 v[11:12], v[15:16], s[8:9], v[13:14]
	v_fma_f64 v[13:14], v[28:29], -0.5, v[4:5]
	v_add_f64 v[4:5], v[4:5], v[30:31]
	v_add_f64 v[15:16], v[32:33], -v[19:20]
	v_mul_u32_u24_e32 v28, 0xbb8, v110
	v_lshlrev_b32_e32 v29, 3, v111
	v_add3_u32 v98, 0, v28, v29
	ds_write2_b64 v98, v[6:7], v[8:9] offset1:125
	ds_write_b64 v98, v[11:12] offset:2000
	v_fma_f64 v[8:9], v[26:27], -0.5, v[2:3]
	v_add_f64 v[11:12], v[71:72], -v[77:78]
	v_add_f64 v[4:5], v[4:5], v[56:57]
	v_fma_f64 v[6:7], v[15:16], s[6:7], v[13:14]
	v_fma_f64 v[13:14], v[15:16], s[8:9], v[13:14]
	v_add_f64 v[2:3], v[2:3], v[69:70]
	v_mul_u32_u24_e32 v28, 0xbb8, v112
	v_lshlrev_b32_e32 v29, 3, v113
	v_add3_u32 v99, 0, v28, v29
	v_add_f64 v[26:27], v[85:86], v[75:76]
	v_add_f64 v[15:16], v[87:88], -v[79:80]
	ds_write2_b64 v99, v[4:5], v[6:7] offset1:125
	v_fma_f64 v[4:5], v[11:12], s[6:7], v[8:9]
	ds_write_b64 v99, v[13:14] offset:2000
	v_mul_u32_u24_e32 v13, 0xbb8, v114
	v_fma_f64 v[8:9], v[11:12], s[8:9], v[8:9]
	v_lshlrev_b32_e32 v11, 3, v115
	v_add_f64 v[2:3], v[2:3], v[73:74]
	v_add3_u32 v100, 0, v13, v11
	v_add_f64 v[11:12], v[58:59], v[17:18]
	v_fma_f64 v[6:7], v[26:27], -0.5, v[0:1]
	v_add_f64 v[0:1], v[0:1], v[85:86]
	v_add_f64 v[93:94], v[103:104], v[107:108]
	ds_write_b64 v100, v[8:9] offset:2000
	v_mul_u32_u24_e32 v8, 0xbb8, v116
	ds_write2_b64 v100, v[2:3], v[4:5] offset1:125
	v_add_f64 v[4:5], v[24:25], v[58:59]
	v_fma_f64 v[58:59], v[11:12], -0.5, v[24:25]
	v_lshlrev_b32_e32 v9, 3, v117
	v_add_f64 v[0:1], v[0:1], v[75:76]
	v_fma_f64 v[2:3], v[15:16], s[6:7], v[6:7]
	v_fma_f64 v[6:7], v[15:16], s[8:9], v[6:7]
	v_add3_u32 v105, 0, v8, v9
	v_add_f64 v[54:55], v[101:102], -v[54:55]
	v_add_f64 v[8:9], v[4:5], v[17:18]
	v_fma_f64 v[95:96], v[34:35], s[8:9], v[58:59]
	v_fma_f64 v[34:35], v[34:35], s[6:7], v[58:59]
	v_add_f64 v[58:59], v[89:90], v[103:104]
	v_fma_f64 v[89:90], v[93:94], -0.5, v[89:90]
	ds_write2_b64 v105, v[0:1], v[2:3] offset1:125
	ds_write_b64 v105, v[6:7] offset:2000
	s_waitcnt lgkmcnt(0)
	s_barrier
	ds_read_b64 v[4:5], v43
	ds_read_b64 v[109:110], v38
	;; [unrolled: 1-line block ×5, first 2 shown]
	ds_read2_b64 v[11:14], v44 offset0:5 offset1:230
	ds_read2_b64 v[15:18], v48 offset0:9 offset1:234
	;; [unrolled: 1-line block ×5, first 2 shown]
	s_waitcnt lgkmcnt(0)
	s_barrier
	ds_write2_b64 v97, v[8:9], v[95:96] offset1:125
	v_add_f64 v[8:9], v[32:33], v[19:20]
	ds_write_b64 v97, v[34:35] offset:2000
	v_add_f64 v[34:35], v[58:59], v[107:108]
	v_add_f64 v[58:59], v[71:72], v[77:78]
	v_fma_f64 v[93:94], v[54:55], s[8:9], v[89:90]
	v_fma_f64 v[54:55], v[54:55], s[6:7], v[89:90]
	v_add_f64 v[89:90], v[87:88], v[79:80]
	v_add_f64 v[32:33], v[81:82], v[32:33]
	v_fma_f64 v[8:9], v[8:9], -0.5, v[81:82]
	v_add_f64 v[30:31], v[30:31], -v[56:57]
	v_add_f64 v[56:57], v[83:84], v[71:72]
	v_fma_f64 v[58:59], v[58:59], -0.5, v[83:84]
	v_add_f64 v[69:70], v[69:70], -v[73:74]
	;; [unrolled: 3-line block ×3, first 2 shown]
	v_add_f64 v[19:20], v[32:33], v[19:20]
	v_fma_f64 v[32:33], v[30:31], s[8:9], v[8:9]
	v_fma_f64 v[8:9], v[30:31], s[6:7], v[8:9]
	v_add_f64 v[30:31], v[56:57], v[77:78]
	v_fma_f64 v[56:57], v[69:70], s[8:9], v[58:59]
	v_fma_f64 v[58:59], v[69:70], s[6:7], v[58:59]
	;; [unrolled: 3-line block ×3, first 2 shown]
	ds_write2_b64 v98, v[34:35], v[93:94] offset1:125
	ds_write_b64 v98, v[54:55] offset:2000
	ds_write2_b64 v99, v[19:20], v[32:33] offset1:125
	ds_write_b64 v99, v[8:9] offset:2000
	ds_write2_b64 v100, v[30:31], v[56:57] offset1:125
	ds_write_b64 v100, v[58:59] offset:2000
	ds_write2_b64 v105, v[69:70], v[71:72] offset1:125
	ds_write_b64 v105, v[73:74] offset:2000
	v_lshlrev_b32_e32 v20, 1, v64
	v_lshlrev_b64 v[8:9], 4, v[20:21]
	s_waitcnt lgkmcnt(0)
	v_add_co_u32_e64 v32, s[0:1], s12, v8
	v_addc_co_u32_e64 v33, s[0:1], v10, v9, s[0:1]
	v_add_co_u32_e64 v8, s[0:1], s14, v32
	v_addc_co_u32_e64 v9, s[0:1], 0, v33, s[0:1]
	s_movk_i32 s0, 0x96
	s_barrier
	global_load_dwordx4 v[54:57], v[8:9], off offset:1824
	v_add_u32_e32 v8, 0xffffff6a, v64
	v_cmp_gt_u32_e64 s[0:1], s0, v64
	v_cndmask_b32_e64 v113, v8, v65, s[0:1]
	v_lshlrev_b32_e32 v8, 1, v113
	v_mov_b32_e32 v9, v21
	v_lshlrev_b64 v[8:9], 4, v[8:9]
	v_add_u32_e32 v20, 0x96, v20
	v_add_co_u32_e64 v19, s[0:1], s12, v8
	v_addc_co_u32_e64 v31, s[0:1], v10, v9, s[0:1]
	v_add_co_u32_e64 v8, s[0:1], s14, v19
	v_addc_co_u32_e64 v9, s[0:1], 0, v31, s[0:1]
	v_add_co_u32_e64 v30, s[0:1], s15, v19
	v_addc_co_u32_e64 v31, s[0:1], 0, v31, s[0:1]
	global_load_dwordx4 v[69:72], v[8:9], off offset:1824
	global_load_dwordx4 v[73:76], v[30:31], off offset:16
	v_lshlrev_b64 v[8:9], 4, v[20:21]
	v_add_co_u32_e64 v19, s[0:1], s12, v8
	v_addc_co_u32_e64 v20, s[0:1], v10, v9, s[0:1]
	v_add_co_u32_e64 v8, s[0:1], s15, v19
	v_addc_co_u32_e64 v9, s[0:1], 0, v20, s[0:1]
	;; [unrolled: 2-line block ×3, first 2 shown]
	global_load_dwordx4 v[77:80], v[8:9], off offset:16
	global_load_dwordx4 v[81:84], v[19:20], off offset:1824
	v_mul_u32_u24_sdwa v8, v66, s16 dst_sel:DWORD dst_unused:UNUSED_PAD src0_sel:WORD_0 src1_sel:DWORD
	v_sub_u16_sdwa v9, v66, v8 dst_sel:DWORD dst_unused:UNUSED_PAD src0_sel:DWORD src1_sel:WORD_1
	v_lshrrev_b16_e32 v9, 1, v9
	v_add_u16_sdwa v114, v9, v8 dst_sel:DWORD dst_unused:UNUSED_PAD src0_sel:DWORD src1_sel:WORD_1
	v_mul_lo_u16_sdwa v8, v114, s17 dst_sel:DWORD dst_unused:UNUSED_PAD src0_sel:BYTE_1 src1_sel:DWORD
	v_sub_u16_e32 v115, v66, v8
	v_lshlrev_b32_e32 v8, 5, v115
	v_add_co_u32_e64 v19, s[0:1], s12, v8
	v_addc_co_u32_e64 v20, s[0:1], 0, v10, s[0:1]
	v_add_co_u32_e64 v8, s[0:1], s14, v19
	v_addc_co_u32_e64 v9, s[0:1], 0, v20, s[0:1]
	global_load_dwordx4 v[85:88], v[8:9], off offset:1824
	v_add_co_u32_e64 v8, s[0:1], s15, v32
	v_addc_co_u32_e64 v9, s[0:1], 0, v33, s[0:1]
	global_load_dwordx4 v[89:92], v[8:9], off offset:16
	v_mul_u32_u24_sdwa v8, v68, s16 dst_sel:DWORD dst_unused:UNUSED_PAD src0_sel:WORD_0 src1_sel:DWORD
	v_sub_u16_sdwa v9, v68, v8 dst_sel:DWORD dst_unused:UNUSED_PAD src0_sel:DWORD src1_sel:WORD_1
	v_lshrrev_b16_e32 v9, 1, v9
	v_add_u16_sdwa v8, v9, v8 dst_sel:DWORD dst_unused:UNUSED_PAD src0_sel:DWORD src1_sel:WORD_1
	v_mul_lo_u16_sdwa v8, v8, s17 dst_sel:DWORD dst_unused:UNUSED_PAD src0_sel:BYTE_1 src1_sel:DWORD
	v_sub_u16_e32 v116, v68, v8
	v_lshlrev_b32_e32 v8, 5, v116
	v_add_co_u32_e64 v30, s[0:1], s12, v8
	v_addc_co_u32_e64 v10, s[0:1], 0, v10, s[0:1]
	v_add_co_u32_e64 v8, s[0:1], s14, v30
	v_addc_co_u32_e64 v9, s[0:1], 0, v10, s[0:1]
	global_load_dwordx4 v[93:96], v[8:9], off offset:1824
	v_add_co_u32_e64 v8, s[0:1], s15, v19
	v_addc_co_u32_e64 v9, s[0:1], 0, v20, s[0:1]
	global_load_dwordx4 v[97:100], v[8:9], off offset:16
	;; [unrolled: 3-line block ×3, first 2 shown]
	ds_read2_b64 v[105:108], v44 offset0:5 offset1:230
	s_waitcnt vmcnt(9)
	v_mul_f64 v[19:20], v[11:12], v[56:57]
	s_movk_i32 s0, 0x95
	v_cmp_lt_u32_e64 s[0:1], s0, v64
	s_waitcnt lgkmcnt(0)
	v_mul_f64 v[8:9], v[105:106], v[56:57]
	v_fma_f64 v[19:20], v[105:106], v[54:55], v[19:20]
	v_fma_f64 v[58:59], v[11:12], v[54:55], -v[8:9]
	ds_read2_b64 v[8:11], v46 offset0:11 offset1:236
	ds_read2_b64 v[54:57], v47 offset0:7 offset1:232
	s_waitcnt vmcnt(8)
	v_mul_f64 v[30:31], v[107:108], v[71:72]
	v_mul_f64 v[34:35], v[13:14], v[71:72]
	v_fma_f64 v[12:13], v[13:14], v[69:70], -v[30:31]
	v_fma_f64 v[30:31], v[107:108], v[69:70], v[34:35]
	s_waitcnt vmcnt(7) lgkmcnt(1)
	v_mul_f64 v[34:35], v[8:9], v[75:76]
	v_mul_f64 v[75:76], v[22:23], v[75:76]
	ds_read2_b64 v[69:72], v48 offset0:9 offset1:234
	s_waitcnt vmcnt(6)
	v_mul_f64 v[105:106], v[10:11], v[79:80]
	v_mul_f64 v[79:80], v[24:25], v[79:80]
	s_waitcnt vmcnt(5) lgkmcnt(1)
	v_mul_f64 v[107:108], v[54:55], v[83:84]
	v_fma_f64 v[22:23], v[22:23], v[73:74], -v[34:35]
	v_fma_f64 v[34:35], v[8:9], v[73:74], v[75:76]
	v_mul_f64 v[83:84], v[26:27], v[83:84]
	v_fma_f64 v[75:76], v[24:25], v[77:78], -v[105:106]
	v_fma_f64 v[77:78], v[10:11], v[77:78], v[79:80]
	v_fma_f64 v[79:80], v[26:27], v[81:82], -v[107:108]
	ds_read2_b64 v[8:11], v49 offset0:13 offset1:238
	v_fma_f64 v[54:55], v[54:55], v[81:82], v[83:84]
	s_waitcnt vmcnt(4)
	v_mul_f64 v[111:112], v[56:57], v[87:88]
	v_mul_f64 v[24:25], v[28:29], v[87:88]
	s_waitcnt vmcnt(3) lgkmcnt(1)
	v_mul_f64 v[73:74], v[71:72], v[91:92]
	v_fma_f64 v[81:82], v[28:29], v[85:86], -v[111:112]
	v_fma_f64 v[56:57], v[56:57], v[85:86], v[24:25]
	v_fma_f64 v[26:27], v[17:18], v[89:90], -v[73:74]
	v_mul_f64 v[17:18], v[17:18], v[91:92]
	s_waitcnt vmcnt(2)
	v_mul_f64 v[28:29], v[69:70], v[95:96]
	v_mul_f64 v[73:74], v[15:16], v[95:96]
	v_add_f64 v[24:25], v[58:59], v[26:27]
	v_fma_f64 v[17:18], v[71:72], v[89:90], v[17:18]
	s_waitcnt vmcnt(1)
	v_mul_f64 v[87:88], v[50:51], v[99:100]
	s_waitcnt lgkmcnt(0)
	v_mul_f64 v[83:84], v[8:9], v[99:100]
	v_fma_f64 v[71:72], v[15:16], v[93:94], -v[28:29]
	v_fma_f64 v[69:70], v[69:70], v[93:94], v[73:74]
	s_waitcnt vmcnt(0)
	v_mul_f64 v[91:92], v[10:11], v[103:104]
	v_fma_f64 v[14:15], v[24:25], -0.5, v[109:110]
	v_add_f64 v[24:25], v[109:110], v[58:59]
	v_fma_f64 v[73:74], v[8:9], v[97:98], v[87:88]
	v_mul_f64 v[8:9], v[52:53], v[103:104]
	v_add_f64 v[28:29], v[19:20], v[17:18]
	v_fma_f64 v[50:51], v[50:51], v[97:98], -v[83:84]
	v_add_f64 v[85:86], v[19:20], -v[17:18]
	v_fma_f64 v[83:84], v[52:53], v[101:102], -v[91:92]
	v_add_f64 v[52:53], v[58:59], -v[26:27]
	ds_read_b64 v[58:59], v38
	ds_read_b64 v[87:88], v39
	;; [unrolled: 1-line block ×4, first 2 shown]
	v_add_f64 v[95:96], v[56:57], -v[73:74]
	s_waitcnt lgkmcnt(3)
	v_add_f64 v[19:20], v[58:59], v[19:20]
	v_fma_f64 v[28:29], v[28:29], -0.5, v[58:59]
	v_fma_f64 v[58:59], v[10:11], v[101:102], v[8:9]
	v_add_f64 v[8:9], v[24:25], v[26:27]
	v_add_f64 v[10:11], v[12:13], v[22:23]
	;; [unrolled: 1-line block ×3, first 2 shown]
	v_fma_f64 v[24:25], v[85:86], s[6:7], v[14:15]
	v_fma_f64 v[14:15], v[85:86], s[8:9], v[14:15]
	v_add_f64 v[85:86], v[19:20], v[17:18]
	v_add_f64 v[16:17], v[30:31], v[34:35]
	v_fma_f64 v[93:94], v[52:53], s[8:9], v[28:29]
	v_fma_f64 v[52:53], v[52:53], s[6:7], v[28:29]
	v_fma_f64 v[6:7], v[10:11], -0.5, v[6:7]
	v_add_f64 v[10:11], v[30:31], -v[34:35]
	v_add_f64 v[18:19], v[26:27], v[22:23]
	v_add_f64 v[26:27], v[79:80], v[75:76]
	v_add_f64 v[12:13], v[12:13], -v[22:23]
	v_add_f64 v[22:23], v[81:82], v[50:51]
	v_add_f64 v[28:29], v[71:72], v[83:84]
	s_waitcnt lgkmcnt(1)
	v_fma_f64 v[16:17], v[16:17], -0.5, v[89:90]
	v_add_f64 v[30:31], v[89:90], v[30:31]
	v_fma_f64 v[89:90], v[10:11], s[6:7], v[6:7]
	v_fma_f64 v[6:7], v[10:11], s[8:9], v[6:7]
	v_fma_f64 v[10:11], v[26:27], -0.5, v[4:5]
	v_add_f64 v[4:5], v[4:5], v[79:80]
	v_add_f64 v[26:27], v[54:55], -v[77:78]
	v_fma_f64 v[22:23], v[22:23], -0.5, v[2:3]
	v_fma_f64 v[28:29], v[28:29], -0.5, v[0:1]
	v_add_f64 v[2:3], v[2:3], v[81:82]
	v_add_f64 v[0:1], v[0:1], v[71:72]
	v_add_f64 v[97:98], v[69:70], -v[58:59]
	v_fma_f64 v[99:100], v[12:13], s[8:9], v[16:17]
	v_add_f64 v[4:5], v[4:5], v[75:76]
	v_fma_f64 v[101:102], v[12:13], s[6:7], v[16:17]
	v_fma_f64 v[12:13], v[26:27], s[6:7], v[10:11]
	v_fma_f64 v[10:11], v[26:27], s[8:9], v[10:11]
	v_add_f64 v[2:3], v[2:3], v[50:51]
	v_add_f64 v[0:1], v[0:1], v[83:84]
	v_fma_f64 v[16:17], v[95:96], s[6:7], v[22:23]
	v_fma_f64 v[26:27], v[97:98], s[6:7], v[28:29]
	;; [unrolled: 1-line block ×4, first 2 shown]
	ds_read_b64 v[95:96], v43
	s_waitcnt lgkmcnt(0)
	s_barrier
	ds_write_b64 v38, v[8:9]
	v_mov_b32_e32 v8, 0x2328
	v_add_f64 v[34:35], v[30:31], v[34:35]
	v_cndmask_b32_e64 v8, 0, v8, s[0:1]
	v_lshlrev_b32_e32 v9, 3, v113
	v_add3_u32 v20, 0, v8, v9
	ds_write_b64 v38, v[24:25] offset:3000
	ds_write_b64 v38, v[14:15] offset:6000
	ds_write_b64 v20, v[18:19]
	ds_write_b64 v20, v[89:90] offset:3000
	v_lshl_add_u32 v89, v64, 3, 0
	s_movk_i32 s0, 0x2328
	ds_write_b64 v20, v[6:7] offset:6000
	ds_write_b64 v89, v[4:5] offset:9600
	v_mul_u32_u24_sdwa v4, v114, s0 dst_sel:DWORD dst_unused:UNUSED_PAD src0_sel:BYTE_1 src1_sel:DWORD
	v_lshlrev_b32_e32 v5, 3, v115
	v_add3_u32 v90, 0, v4, v5
	v_lshl_add_u32 v97, v116, 3, 0
	ds_write_b64 v89, v[12:13] offset:12600
	ds_write_b64 v89, v[10:11] offset:15600
	ds_write_b64 v90, v[2:3]
	ds_write_b64 v90, v[16:17] offset:3000
	ds_write_b64 v90, v[22:23] offset:6000
	;; [unrolled: 1-line block ×5, first 2 shown]
	s_waitcnt lgkmcnt(0)
	s_barrier
	ds_read_b64 v[26:27], v43
	ds_read_b64 v[22:23], v38
	;; [unrolled: 1-line block ×5, first 2 shown]
	ds_read2_b64 v[0:3], v44 offset0:5 offset1:230
	ds_read2_b64 v[4:7], v48 offset0:9 offset1:234
	;; [unrolled: 1-line block ×5, first 2 shown]
	v_add_f64 v[42:43], v[54:55], v[77:78]
	s_waitcnt lgkmcnt(0)
	s_barrier
	ds_write_b64 v38, v[85:86]
	ds_write_b64 v38, v[93:94] offset:3000
	ds_write_b64 v38, v[52:53] offset:6000
	ds_write_b64 v20, v[34:35]
	ds_write_b64 v20, v[99:100] offset:3000
	v_add_f64 v[34:35], v[56:57], v[73:74]
	v_add_f64 v[52:53], v[79:80], -v[75:76]
	v_add_f64 v[75:76], v[69:70], v[58:59]
	v_add_f64 v[54:55], v[95:96], v[54:55]
	v_fma_f64 v[42:43], v[42:43], -0.5, v[95:96]
	v_add_f64 v[56:57], v[87:88], v[56:57]
	v_add_f64 v[50:51], v[81:82], -v[50:51]
	v_add_f64 v[69:70], v[91:92], v[69:70]
	v_fma_f64 v[34:35], v[34:35], -0.5, v[87:88]
	v_add_f64 v[71:72], v[71:72], -v[83:84]
	v_fma_f64 v[75:76], v[75:76], -0.5, v[91:92]
	v_add_f64 v[54:55], v[54:55], v[77:78]
	v_fma_f64 v[77:78], v[52:53], s[8:9], v[42:43]
	v_fma_f64 v[42:43], v[52:53], s[6:7], v[42:43]
	v_add_f64 v[52:53], v[56:57], v[73:74]
	s_movk_i32 s0, 0x4600
	v_fma_f64 v[56:57], v[50:51], s[8:9], v[34:35]
	v_fma_f64 v[34:35], v[50:51], s[6:7], v[34:35]
	v_add_f64 v[50:51], v[69:70], v[58:59]
	v_fma_f64 v[58:59], v[71:72], s[8:9], v[75:76]
	ds_write_b64 v20, v[101:102] offset:6000
	v_fma_f64 v[69:70], v[71:72], s[6:7], v[75:76]
	ds_write_b64 v89, v[54:55] offset:9600
	ds_write_b64 v89, v[77:78] offset:12600
	;; [unrolled: 1-line block ×3, first 2 shown]
	ds_write_b64 v90, v[52:53]
	ds_write_b64 v90, v[56:57] offset:3000
	ds_write_b64 v90, v[34:35] offset:6000
	;; [unrolled: 1-line block ×5, first 2 shown]
	s_waitcnt lgkmcnt(0)
	s_barrier
	s_and_saveexec_b64 s[14:15], vcc
	s_cbranch_execz .LBB0_15
; %bb.14:
	v_lshlrev_b32_e32 v20, 1, v68
	v_lshlrev_b64 v[34:35], 4, v[20:21]
	v_mov_b32_e32 v58, s13
	v_add_co_u32_e32 v20, vcc, s12, v34
	v_addc_co_u32_e32 v43, vcc, v58, v35, vcc
	v_add_co_u32_e32 v34, vcc, s0, v20
	v_addc_co_u32_e32 v35, vcc, 0, v43, vcc
	s_movk_i32 s1, 0x4000
	v_add_co_u32_e32 v42, vcc, s1, v20
	v_addc_co_u32_e32 v43, vcc, 0, v43, vcc
	global_load_dwordx4 v[50:53], v[42:43], off offset:1536
	global_load_dwordx4 v[54:57], v[34:35], off offset:16
	v_lshlrev_b32_e32 v20, 1, v66
	v_lshlrev_b64 v[34:35], 4, v[20:21]
	v_sub_u32_e32 v104, 0, v40
	v_add_co_u32_e32 v20, vcc, s12, v34
	v_addc_co_u32_e32 v43, vcc, v58, v35, vcc
	v_add_co_u32_e32 v34, vcc, s0, v20
	v_addc_co_u32_e32 v35, vcc, 0, v43, vcc
	;; [unrolled: 2-line block ×3, first 2 shown]
	global_load_dwordx4 v[68:71], v[42:43], off offset:1536
	global_load_dwordx4 v[72:75], v[34:35], off offset:16
	v_lshlrev_b32_e32 v20, 1, v67
	v_lshlrev_b64 v[34:35], 4, v[20:21]
	v_sub_u32_e32 v105, 0, v41
	v_add_co_u32_e32 v20, vcc, s12, v34
	v_addc_co_u32_e32 v43, vcc, v58, v35, vcc
	v_add_co_u32_e32 v34, vcc, s0, v20
	v_addc_co_u32_e32 v35, vcc, 0, v43, vcc
	;; [unrolled: 2-line block ×3, first 2 shown]
	global_load_dwordx4 v[76:79], v[42:43], off offset:1536
	global_load_dwordx4 v[80:83], v[34:35], off offset:16
	v_lshlrev_b32_e32 v20, 1, v65
	ds_read2_b64 v[40:43], v48 offset0:9 offset1:234
	ds_read2_b64 v[84:87], v49 offset0:13 offset1:238
	v_add_co_u32_e32 v48, vcc, s0, v32
	v_lshlrev_b64 v[20:21], 4, v[20:21]
	v_addc_co_u32_e32 v49, vcc, 0, v33, vcc
	v_add_co_u32_e32 v34, vcc, s12, v20
	v_addc_co_u32_e32 v35, vcc, v58, v21, vcc
	v_add_co_u32_e32 v20, vcc, s0, v34
	;; [unrolled: 2-line block ×3, first 2 shown]
	v_addc_co_u32_e32 v35, vcc, 0, v35, vcc
	global_load_dwordx4 v[88:91], v[34:35], off offset:1536
	global_load_dwordx4 v[92:95], v[20:21], off offset:16
	v_add_co_u32_e32 v20, vcc, s1, v32
	v_addc_co_u32_e32 v21, vcc, 0, v33, vcc
	global_load_dwordx4 v[32:35], v[20:21], off offset:1536
	global_load_dwordx4 v[96:99], v[48:49], off offset:16
	v_mul_lo_u32 v67, s5, v62
	v_mul_lo_u32 v100, s4, v63
	v_mad_u64_u32 v[62:63], s[0:1], s4, v62, 0
	v_add_u32_e32 v36, v36, v104
	s_mov_b32 s0, 0xe90452d5
	v_add3_u32 v63, v63, v100, v67
	s_movk_i32 s1, 0xd2f
	s_waitcnt vmcnt(9) lgkmcnt(1)
	v_mul_f64 v[20:21], v[40:41], v[52:53]
	v_mul_f64 v[48:49], v[4:5], v[52:53]
	s_waitcnt vmcnt(8)
	v_mul_f64 v[52:53], v[18:19], v[56:57]
	s_waitcnt lgkmcnt(0)
	v_mul_f64 v[65:66], v[86:87], v[56:57]
	ds_read2_b64 v[56:59], v47 offset0:7 offset1:232
	v_fma_f64 v[4:5], v[4:5], v[50:51], -v[20:21]
	v_fma_f64 v[40:41], v[50:51], v[40:41], v[48:49]
	v_fma_f64 v[47:48], v[54:55], v[86:87], v[52:53]
	v_fma_f64 v[49:50], v[18:19], v[54:55], -v[65:66]
	ds_read2_b64 v[18:21], v46 offset0:11 offset1:236
	ds_read_b64 v[45:46], v45
	s_waitcnt vmcnt(7)
	v_mul_f64 v[51:52], v[14:15], v[70:71]
	s_waitcnt vmcnt(6)
	v_mul_f64 v[53:54], v[16:17], v[74:75]
	s_waitcnt lgkmcnt(2)
	v_mul_f64 v[65:66], v[58:59], v[70:71]
	v_mul_f64 v[70:71], v[84:85], v[74:75]
	v_add_f64 v[74:75], v[40:41], v[47:48]
	v_add_f64 v[86:87], v[4:5], v[49:50]
	s_waitcnt lgkmcnt(0)
	v_add_f64 v[100:101], v[40:41], v[45:46]
	v_fma_f64 v[51:52], v[68:69], v[58:59], v[51:52]
	v_fma_f64 v[53:54], v[72:73], v[84:85], v[53:54]
	v_add_f64 v[58:59], v[4:5], -v[49:50]
	v_fma_f64 v[65:66], v[14:15], v[68:69], -v[65:66]
	v_fma_f64 v[45:46], v[74:75], -0.5, v[45:46]
	v_add_f64 v[74:75], v[40:41], -v[47:48]
	v_fma_f64 v[86:87], v[86:87], -0.5, v[30:31]
	v_fma_f64 v[67:68], v[16:17], v[72:73], -v[70:71]
	v_add_f64 v[4:5], v[30:31], v[4:5]
	v_add_f64 v[14:15], v[51:52], v[53:54]
	;; [unrolled: 1-line block ×3, first 2 shown]
	s_waitcnt vmcnt(5)
	v_mul_f64 v[30:31], v[12:13], v[78:79]
	v_fma_f64 v[47:48], v[58:59], s[6:7], v[45:46]
	v_fma_f64 v[40:41], v[58:59], s[8:9], v[45:46]
	s_waitcnt vmcnt(4)
	v_mul_f64 v[58:59], v[10:11], v[82:83]
	v_mul_f64 v[78:79], v[56:57], v[78:79]
	ds_read_b64 v[84:85], v39
	ds_read_b64 v[100:101], v38
	v_mul_f64 v[82:83], v[20:21], v[82:83]
	v_add_f64 v[102:103], v[65:66], v[67:68]
	v_fma_f64 v[55:56], v[76:77], v[56:57], v[30:31]
	s_waitcnt lgkmcnt(1)
	v_fma_f64 v[71:72], v[14:15], -0.5, v[84:85]
	v_fma_f64 v[20:21], v[80:81], v[20:21], v[58:59]
	v_add_f64 v[14:15], v[4:5], v[49:50]
	v_add_f64 v[4:5], v[51:52], v[84:85]
	v_fma_f64 v[57:58], v[12:13], v[76:77], -v[78:79]
	v_add_u32_e32 v12, v37, v105
	ds_read_b64 v[36:37], v36
	ds_read_b64 v[77:78], v12
	v_fma_f64 v[45:46], v[74:75], s[8:9], v[86:87]
	v_add_f64 v[69:70], v[65:66], -v[67:68]
	v_fma_f64 v[38:39], v[74:75], s[6:7], v[86:87]
	v_fma_f64 v[73:74], v[10:11], v[80:81], -v[82:83]
	v_fma_f64 v[10:11], v[102:103], -0.5, v[28:29]
	v_add_f64 v[49:50], v[55:56], v[20:21]
	v_add_f64 v[75:76], v[51:52], -v[53:54]
	v_add_f64 v[51:52], v[53:54], v[4:5]
	s_waitcnt lgkmcnt(0)
	v_add_f64 v[4:5], v[55:56], v[77:78]
	v_add_f64 v[65:66], v[28:29], v[65:66]
	v_fma_f64 v[30:31], v[69:70], s[6:7], v[71:72]
	v_fma_f64 v[12:13], v[69:70], s[8:9], v[71:72]
	v_add_f64 v[69:70], v[57:58], v[73:74]
	v_add_f64 v[71:72], v[57:58], -v[73:74]
	v_fma_f64 v[79:80], v[49:50], -0.5, v[77:78]
	v_fma_f64 v[28:29], v[75:76], s[8:9], v[10:11]
	v_fma_f64 v[10:11], v[75:76], s[6:7], v[10:11]
	v_add_f64 v[75:76], v[55:56], -v[20:21]
	s_waitcnt vmcnt(3)
	v_mul_f64 v[77:78], v[2:3], v[90:91]
	v_add_f64 v[4:5], v[20:21], v[4:5]
	s_waitcnt vmcnt(2)
	v_mul_f64 v[20:21], v[8:9], v[94:95]
	v_add_f64 v[49:50], v[65:66], v[67:68]
	ds_read2_b64 v[65:68], v44 offset0:5 offset1:230
	v_fma_f64 v[69:70], v[69:70], -0.5, v[26:27]
	v_fma_f64 v[55:56], v[71:72], s[6:7], v[79:80]
	v_fma_f64 v[71:72], v[71:72], s[8:9], v[79:80]
	v_mul_f64 v[81:82], v[18:19], v[94:95]
	s_waitcnt lgkmcnt(0)
	v_mul_f64 v[79:80], v[67:68], v[90:91]
	v_fma_f64 v[67:68], v[88:89], v[67:68], v[77:78]
	v_fma_f64 v[18:19], v[92:93], v[18:19], v[20:21]
	s_waitcnt vmcnt(0)
	v_mul_f64 v[77:78], v[6:7], v[98:99]
	v_fma_f64 v[53:54], v[75:76], s[8:9], v[69:70]
	v_fma_f64 v[69:70], v[75:76], s[6:7], v[69:70]
	v_mul_f64 v[75:76], v[0:1], v[34:35]
	v_add_f64 v[20:21], v[26:27], v[57:58]
	v_fma_f64 v[26:27], v[2:3], v[88:89], -v[79:80]
	v_fma_f64 v[57:58], v[8:9], v[92:93], -v[81:82]
	v_mul_f64 v[2:3], v[65:66], v[34:35]
	v_mul_f64 v[8:9], v[42:43], v[98:99]
	v_add_f64 v[34:35], v[67:68], v[18:19]
	v_fma_f64 v[42:43], v[96:97], v[42:43], v[77:78]
	v_fma_f64 v[65:66], v[32:33], v[65:66], v[75:76]
	v_mul_hi_u32 v44, v64, s0
	v_add_f64 v[75:76], v[26:27], v[57:58]
	v_add_f64 v[77:78], v[26:27], -v[57:58]
	v_fma_f64 v[0:1], v[0:1], v[32:33], -v[2:3]
	v_fma_f64 v[79:80], v[6:7], v[96:97], -v[8:9]
	v_fma_f64 v[32:33], v[34:35], -0.5, v[36:37]
	v_add_f64 v[2:3], v[20:21], v[73:74]
	v_add_f64 v[34:35], v[67:68], v[36:37]
	;; [unrolled: 1-line block ×3, first 2 shown]
	v_fma_f64 v[36:37], v[75:76], -0.5, v[24:25]
	v_add_f64 v[24:25], v[24:25], v[26:27]
	v_add_f64 v[67:68], v[67:68], -v[18:19]
	v_add_f64 v[73:74], v[0:1], -v[79:80]
	v_fma_f64 v[8:9], v[77:78], s[6:7], v[32:33]
	v_fma_f64 v[20:21], v[77:78], s[8:9], v[32:33]
	v_add_f64 v[32:33], v[0:1], v[79:80]
	v_fma_f64 v[75:76], v[6:7], -0.5, v[100:101]
	v_add_f64 v[0:1], v[22:23], v[0:1]
	v_add_f64 v[24:25], v[24:25], v[57:58]
	;; [unrolled: 1-line block ×3, first 2 shown]
	v_fma_f64 v[6:7], v[67:68], s[8:9], v[36:37]
	v_fma_f64 v[18:19], v[67:68], s[6:7], v[36:37]
	v_add_f64 v[36:37], v[65:66], v[100:101]
	v_fma_f64 v[57:58], v[32:33], -0.5, v[22:23]
	v_lshrrev_b32_e32 v32, 10, v44
	v_mul_u32_u24_e32 v32, 0x465, v32
	v_sub_u32_e32 v44, v64, v32
	v_mad_u64_u32 v[77:78], s[4:5], s2, v44, 0
	v_add_f64 v[65:66], v[65:66], -v[42:43]
	v_fma_f64 v[34:35], v[73:74], s[6:7], v[75:76]
	v_mov_b32_e32 v22, v78
	v_mad_u64_u32 v[22:23], s[4:5], s3, v44, v[22:23]
	v_fma_f64 v[67:68], v[73:74], s[8:9], v[75:76]
	v_add_f64 v[73:74], v[0:1], v[79:80]
	v_lshlrev_b64 v[0:1], 4, v[62:63]
	v_add_f64 v[75:76], v[42:43], v[36:37]
	v_mov_b32_e32 v78, v22
	v_mov_b32_e32 v22, s11
	v_add_co_u32_e32 v36, vcc, s10, v0
	v_add_u32_e32 v42, 0x465, v44
	v_addc_co_u32_e32 v37, vcc, v22, v1, vcc
	v_mad_u64_u32 v[22:23], s[4:5], s2, v42, 0
	v_lshlrev_b64 v[0:1], 4, v[60:61]
	v_fma_f64 v[32:33], v[65:66], s[8:9], v[57:58]
	v_fma_f64 v[65:66], v[65:66], s[6:7], v[57:58]
	v_add_co_u32_e32 v57, vcc, v36, v0
	v_addc_co_u32_e32 v58, vcc, v37, v1, vcc
	v_mad_u64_u32 v[36:37], s[4:5], s3, v42, v[23:24]
	v_lshlrev_b64 v[0:1], 4, v[77:78]
	v_add_co_u32_e32 v0, vcc, v57, v0
	v_addc_co_u32_e32 v1, vcc, v58, v1, vcc
	v_mov_b32_e32 v23, v36
	v_add_u32_e32 v36, 0x8ca, v44
	global_store_dwordx4 v[0:1], v[73:76], off
	v_lshlrev_b64 v[0:1], 4, v[22:23]
	v_mad_u64_u32 v[22:23], s[4:5], s2, v36, 0
	v_add_co_u32_e32 v0, vcc, v57, v0
	v_mad_u64_u32 v[36:37], s[4:5], s3, v36, v[23:24]
	v_add_u32_e32 v37, 0xe1, v64
	v_mul_hi_u32 v42, v37, s0
	v_addc_co_u32_e32 v1, vcc, v58, v1, vcc
	v_mov_b32_e32 v23, v36
	global_store_dwordx4 v[0:1], v[65:68], off
	v_lshlrev_b64 v[0:1], 4, v[22:23]
	v_lshrrev_b32_e32 v22, 10, v42
	v_mul_u32_u24_e32 v23, 0x465, v22
	v_sub_u32_e32 v23, v37, v23
	v_mad_u32_u24 v44, v22, s1, v23
	v_mad_u64_u32 v[22:23], s[4:5], s2, v44, 0
	v_add_co_u32_e32 v0, vcc, v57, v0
	v_mad_u64_u32 v[36:37], s[4:5], s3, v44, v[23:24]
	v_add_u32_e32 v37, 0x465, v44
	v_mad_u64_u32 v[42:43], s[4:5], s2, v37, 0
	v_addc_co_u32_e32 v1, vcc, v58, v1, vcc
	v_mov_b32_e32 v23, v36
	global_store_dwordx4 v[0:1], v[32:35], off
	v_lshlrev_b64 v[0:1], 4, v[22:23]
	v_mov_b32_e32 v22, v43
	v_mad_u64_u32 v[22:23], s[4:5], s3, v37, v[22:23]
	v_add_co_u32_e32 v0, vcc, v57, v0
	v_addc_co_u32_e32 v1, vcc, v58, v1, vcc
	global_store_dwordx4 v[0:1], v[24:27], off
	v_mov_b32_e32 v43, v22
	v_add_u32_e32 v24, 0x8ca, v44
	v_mad_u64_u32 v[22:23], s[4:5], s2, v24, 0
	v_lshlrev_b64 v[0:1], 4, v[42:43]
	v_mad_u64_u32 v[23:24], s[4:5], s3, v24, v[23:24]
	v_add_u32_e32 v24, 0x1c2, v64
	v_mul_hi_u32 v25, v24, s0
	v_add_co_u32_e32 v0, vcc, v57, v0
	v_addc_co_u32_e32 v1, vcc, v58, v1, vcc
	global_store_dwordx4 v[0:1], v[18:21], off
	v_lshlrev_b64 v[0:1], 4, v[22:23]
	v_lshrrev_b32_e32 v18, 10, v25
	v_mul_u32_u24_e32 v19, 0x465, v18
	v_sub_u32_e32 v19, v24, v19
	v_mad_u32_u24 v22, v18, s1, v19
	v_mad_u64_u32 v[18:19], s[4:5], s2, v22, 0
	v_add_co_u32_e32 v0, vcc, v57, v0
	v_mad_u64_u32 v[19:20], s[4:5], s3, v22, v[19:20]
	v_addc_co_u32_e32 v1, vcc, v58, v1, vcc
	v_add_u32_e32 v23, 0x465, v22
	global_store_dwordx4 v[0:1], v[6:9], off
	v_lshlrev_b64 v[0:1], 4, v[18:19]
	v_mad_u64_u32 v[20:21], s[4:5], s2, v23, 0
	v_add_co_u32_e32 v0, vcc, v57, v0
	v_addc_co_u32_e32 v1, vcc, v58, v1, vcc
	global_store_dwordx4 v[0:1], v[2:5], off
	v_mov_b32_e32 v6, v21
	v_add_u32_e32 v4, 0x8ca, v22
	v_mad_u64_u32 v[2:3], s[4:5], s2, v4, 0
	v_mad_u64_u32 v[6:7], s[4:5], s3, v23, v[6:7]
	;; [unrolled: 1-line block ×3, first 2 shown]
	v_mov_b32_e32 v21, v6
	v_add_u32_e32 v4, 0x2a3, v64
	v_lshlrev_b64 v[0:1], 4, v[20:21]
	v_mul_hi_u32 v5, v4, s0
	v_add_co_u32_e32 v0, vcc, v57, v0
	v_addc_co_u32_e32 v1, vcc, v58, v1, vcc
	global_store_dwordx4 v[0:1], v[69:72], off
	v_lshlrev_b64 v[0:1], 4, v[2:3]
	v_lshrrev_b32_e32 v2, 10, v5
	v_mul_u32_u24_e32 v3, 0x465, v2
	v_sub_u32_e32 v3, v4, v3
	v_mad_u32_u24 v6, v2, s1, v3
	v_mad_u64_u32 v[2:3], s[4:5], s2, v6, 0
	v_add_u32_e32 v7, 0x465, v6
	v_add_co_u32_e32 v0, vcc, v57, v0
	v_mad_u64_u32 v[3:4], s[4:5], s3, v6, v[3:4]
	v_mad_u64_u32 v[4:5], s[4:5], s2, v7, 0
	v_addc_co_u32_e32 v1, vcc, v58, v1, vcc
	global_store_dwordx4 v[0:1], v[53:56], off
	v_lshlrev_b64 v[0:1], 4, v[2:3]
	v_mov_b32_e32 v2, v5
	v_mad_u64_u32 v[2:3], s[4:5], s3, v7, v[2:3]
	v_add_co_u32_e32 v0, vcc, v57, v0
	v_addc_co_u32_e32 v1, vcc, v58, v1, vcc
	v_mov_b32_e32 v5, v2
	global_store_dwordx4 v[0:1], v[49:52], off
	v_lshlrev_b64 v[0:1], 4, v[4:5]
	v_add_u32_e32 v4, 0x8ca, v6
	v_mad_u64_u32 v[2:3], s[4:5], s2, v4, 0
	v_add_u32_e32 v5, 0x384, v64
	v_mul_hi_u32 v6, v5, s0
	v_mad_u64_u32 v[3:4], s[4:5], s3, v4, v[3:4]
	v_add_co_u32_e32 v0, vcc, v57, v0
	v_lshrrev_b32_e32 v4, 10, v6
	v_mul_u32_u24_e32 v6, 0x465, v4
	v_sub_u32_e32 v5, v5, v6
	v_mad_u32_u24 v6, v4, s1, v5
	v_mad_u64_u32 v[4:5], s[0:1], s2, v6, 0
	v_addc_co_u32_e32 v1, vcc, v58, v1, vcc
	global_store_dwordx4 v[0:1], v[10:13], off
	v_lshlrev_b64 v[0:1], 4, v[2:3]
	v_mov_b32_e32 v2, v5
	v_mad_u64_u32 v[2:3], s[0:1], s3, v6, v[2:3]
	v_add_co_u32_e32 v0, vcc, v57, v0
	v_addc_co_u32_e32 v1, vcc, v58, v1, vcc
	v_mov_b32_e32 v5, v2
	global_store_dwordx4 v[0:1], v[28:31], off
	v_lshlrev_b64 v[0:1], 4, v[4:5]
	v_add_u32_e32 v4, 0x465, v6
	v_mad_u64_u32 v[2:3], s[0:1], s2, v4, 0
	v_add_u32_e32 v6, 0x8ca, v6
	v_add_co_u32_e32 v0, vcc, v57, v0
	v_mad_u64_u32 v[3:4], s[0:1], s3, v4, v[3:4]
	v_mad_u64_u32 v[4:5], s[0:1], s2, v6, 0
	v_addc_co_u32_e32 v1, vcc, v58, v1, vcc
	global_store_dwordx4 v[0:1], v[14:17], off
	v_lshlrev_b64 v[0:1], 4, v[2:3]
	v_mov_b32_e32 v2, v5
	v_mad_u64_u32 v[2:3], s[0:1], s3, v6, v[2:3]
	v_add_co_u32_e32 v0, vcc, v57, v0
	v_addc_co_u32_e32 v1, vcc, v58, v1, vcc
	v_mov_b32_e32 v5, v2
	global_store_dwordx4 v[0:1], v[38:41], off
	v_lshlrev_b64 v[0:1], 4, v[4:5]
	v_add_co_u32_e32 v0, vcc, v57, v0
	v_addc_co_u32_e32 v1, vcc, v58, v1, vcc
	global_store_dwordx4 v[0:1], v[45:48], off
.LBB0_15:
	s_endpgm
	.section	.rodata,"a",@progbits
	.p2align	6, 0x0
	.amdhsa_kernel fft_rtc_fwd_len3375_factors_5_5_5_3_3_3_wgs_225_tpt_225_halfLds_dp_op_CI_CI_sbrr_dirReg
		.amdhsa_group_segment_fixed_size 0
		.amdhsa_private_segment_fixed_size 0
		.amdhsa_kernarg_size 104
		.amdhsa_user_sgpr_count 6
		.amdhsa_user_sgpr_private_segment_buffer 1
		.amdhsa_user_sgpr_dispatch_ptr 0
		.amdhsa_user_sgpr_queue_ptr 0
		.amdhsa_user_sgpr_kernarg_segment_ptr 1
		.amdhsa_user_sgpr_dispatch_id 0
		.amdhsa_user_sgpr_flat_scratch_init 0
		.amdhsa_user_sgpr_private_segment_size 0
		.amdhsa_uses_dynamic_stack 0
		.amdhsa_system_sgpr_private_segment_wavefront_offset 0
		.amdhsa_system_sgpr_workgroup_id_x 1
		.amdhsa_system_sgpr_workgroup_id_y 0
		.amdhsa_system_sgpr_workgroup_id_z 0
		.amdhsa_system_sgpr_workgroup_info 0
		.amdhsa_system_vgpr_workitem_id 0
		.amdhsa_next_free_vgpr 129
		.amdhsa_next_free_sgpr 32
		.amdhsa_reserve_vcc 1
		.amdhsa_reserve_flat_scratch 0
		.amdhsa_float_round_mode_32 0
		.amdhsa_float_round_mode_16_64 0
		.amdhsa_float_denorm_mode_32 3
		.amdhsa_float_denorm_mode_16_64 3
		.amdhsa_dx10_clamp 1
		.amdhsa_ieee_mode 1
		.amdhsa_fp16_overflow 0
		.amdhsa_exception_fp_ieee_invalid_op 0
		.amdhsa_exception_fp_denorm_src 0
		.amdhsa_exception_fp_ieee_div_zero 0
		.amdhsa_exception_fp_ieee_overflow 0
		.amdhsa_exception_fp_ieee_underflow 0
		.amdhsa_exception_fp_ieee_inexact 0
		.amdhsa_exception_int_div_zero 0
	.end_amdhsa_kernel
	.text
.Lfunc_end0:
	.size	fft_rtc_fwd_len3375_factors_5_5_5_3_3_3_wgs_225_tpt_225_halfLds_dp_op_CI_CI_sbrr_dirReg, .Lfunc_end0-fft_rtc_fwd_len3375_factors_5_5_5_3_3_3_wgs_225_tpt_225_halfLds_dp_op_CI_CI_sbrr_dirReg
                                        ; -- End function
	.section	.AMDGPU.csdata,"",@progbits
; Kernel info:
; codeLenInByte = 14904
; NumSgprs: 36
; NumVgprs: 129
; ScratchSize: 0
; MemoryBound: 1
; FloatMode: 240
; IeeeMode: 1
; LDSByteSize: 0 bytes/workgroup (compile time only)
; SGPRBlocks: 4
; VGPRBlocks: 32
; NumSGPRsForWavesPerEU: 36
; NumVGPRsForWavesPerEU: 129
; Occupancy: 1
; WaveLimiterHint : 1
; COMPUTE_PGM_RSRC2:SCRATCH_EN: 0
; COMPUTE_PGM_RSRC2:USER_SGPR: 6
; COMPUTE_PGM_RSRC2:TRAP_HANDLER: 0
; COMPUTE_PGM_RSRC2:TGID_X_EN: 1
; COMPUTE_PGM_RSRC2:TGID_Y_EN: 0
; COMPUTE_PGM_RSRC2:TGID_Z_EN: 0
; COMPUTE_PGM_RSRC2:TIDIG_COMP_CNT: 0
	.type	__hip_cuid_cba7125b7484341e,@object ; @__hip_cuid_cba7125b7484341e
	.section	.bss,"aw",@nobits
	.globl	__hip_cuid_cba7125b7484341e
__hip_cuid_cba7125b7484341e:
	.byte	0                               ; 0x0
	.size	__hip_cuid_cba7125b7484341e, 1

	.ident	"AMD clang version 19.0.0git (https://github.com/RadeonOpenCompute/llvm-project roc-6.4.0 25133 c7fe45cf4b819c5991fe208aaa96edf142730f1d)"
	.section	".note.GNU-stack","",@progbits
	.addrsig
	.addrsig_sym __hip_cuid_cba7125b7484341e
	.amdgpu_metadata
---
amdhsa.kernels:
  - .args:
      - .actual_access:  read_only
        .address_space:  global
        .offset:         0
        .size:           8
        .value_kind:     global_buffer
      - .offset:         8
        .size:           8
        .value_kind:     by_value
      - .actual_access:  read_only
        .address_space:  global
        .offset:         16
        .size:           8
        .value_kind:     global_buffer
      - .actual_access:  read_only
        .address_space:  global
        .offset:         24
        .size:           8
        .value_kind:     global_buffer
      - .actual_access:  read_only
        .address_space:  global
        .offset:         32
        .size:           8
        .value_kind:     global_buffer
      - .offset:         40
        .size:           8
        .value_kind:     by_value
      - .actual_access:  read_only
        .address_space:  global
        .offset:         48
        .size:           8
        .value_kind:     global_buffer
      - .actual_access:  read_only
        .address_space:  global
        .offset:         56
        .size:           8
        .value_kind:     global_buffer
      - .offset:         64
        .size:           4
        .value_kind:     by_value
      - .actual_access:  read_only
        .address_space:  global
        .offset:         72
        .size:           8
        .value_kind:     global_buffer
      - .actual_access:  read_only
        .address_space:  global
        .offset:         80
        .size:           8
        .value_kind:     global_buffer
      - .actual_access:  read_only
        .address_space:  global
        .offset:         88
        .size:           8
        .value_kind:     global_buffer
      - .actual_access:  write_only
        .address_space:  global
        .offset:         96
        .size:           8
        .value_kind:     global_buffer
    .group_segment_fixed_size: 0
    .kernarg_segment_align: 8
    .kernarg_segment_size: 104
    .language:       OpenCL C
    .language_version:
      - 2
      - 0
    .max_flat_workgroup_size: 225
    .name:           fft_rtc_fwd_len3375_factors_5_5_5_3_3_3_wgs_225_tpt_225_halfLds_dp_op_CI_CI_sbrr_dirReg
    .private_segment_fixed_size: 0
    .sgpr_count:     36
    .sgpr_spill_count: 0
    .symbol:         fft_rtc_fwd_len3375_factors_5_5_5_3_3_3_wgs_225_tpt_225_halfLds_dp_op_CI_CI_sbrr_dirReg.kd
    .uniform_work_group_size: 1
    .uses_dynamic_stack: false
    .vgpr_count:     129
    .vgpr_spill_count: 0
    .wavefront_size: 64
amdhsa.target:   amdgcn-amd-amdhsa--gfx906
amdhsa.version:
  - 1
  - 2
...

	.end_amdgpu_metadata
